;; amdgpu-corpus repo=ROCm/rocFFT kind=compiled arch=gfx1030 opt=O3
	.text
	.amdgcn_target "amdgcn-amd-amdhsa--gfx1030"
	.amdhsa_code_object_version 6
	.protected	bluestein_single_fwd_len1210_dim1_sp_op_CI_CI ; -- Begin function bluestein_single_fwd_len1210_dim1_sp_op_CI_CI
	.globl	bluestein_single_fwd_len1210_dim1_sp_op_CI_CI
	.p2align	8
	.type	bluestein_single_fwd_len1210_dim1_sp_op_CI_CI,@function
bluestein_single_fwd_len1210_dim1_sp_op_CI_CI: ; @bluestein_single_fwd_len1210_dim1_sp_op_CI_CI
; %bb.0:
	s_load_dwordx4 s[8:11], s[4:5], 0x28
	v_mul_u32_u24_e32 v1, 0x254, v0
	v_mov_b32_e32 v83, 0
	s_mov_b32 s0, exec_lo
	v_lshrrev_b32_e32 v1, 16, v1
	v_add_nc_u32_e32 v82, s6, v1
	s_waitcnt lgkmcnt(0)
	v_cmpx_gt_u64_e64 s[8:9], v[82:83]
	s_cbranch_execz .LBB0_23
; %bb.1:
	s_clause 0x1
	s_load_dwordx4 s[0:3], s[4:5], 0x18
	s_load_dwordx2 s[6:7], s[4:5], 0x0
	v_mul_lo_u16 v1, 0x6e, v1
	v_sub_nc_u16 v28, v0, v1
	v_and_b32_e32 v104, 0xffff, v28
	v_lshlrev_b32_e32 v103, 3, v104
	s_waitcnt lgkmcnt(0)
	s_load_dwordx4 s[12:15], s[0:1], 0x0
	s_clause 0x2
	global_load_dwordx2 v[95:96], v103, s[6:7]
	global_load_dwordx2 v[89:90], v103, s[6:7] offset:880
	global_load_dwordx2 v[80:81], v103, s[6:7] offset:1760
	v_add_co_u32 v56, s0, s6, v103
	v_add_co_ci_u32_e64 v57, null, s7, 0, s0
	v_add_co_u32 v76, vcc_lo, 0x1000, v56
	v_add_co_ci_u32_e32 v77, vcc_lo, 0, v57, vcc_lo
	v_add_co_u32 v2, vcc_lo, 0x1800, v56
	v_add_co_ci_u32_e32 v3, vcc_lo, 0, v57, vcc_lo
	;; [unrolled: 2-line block ×3, first 2 shown]
	s_waitcnt lgkmcnt(0)
	v_mad_u64_u32 v[0:1], null, s14, v82, 0
	v_mad_u64_u32 v[4:5], null, s12, v104, 0
	v_add_co_u32 v78, vcc_lo, 0x2000, v56
	v_add_co_ci_u32_e32 v79, vcc_lo, 0, v57, vcc_lo
	v_mad_u64_u32 v[8:9], null, s15, v82, v[1:2]
	v_mad_u64_u32 v[9:10], null, s13, v104, v[5:6]
	s_mul_i32 s1, s13, 0x25d
	s_mul_hi_u32 s7, s12, 0x25d
	s_mul_i32 s0, s12, 0x25d
	s_mul_hi_u32 s9, s12, 0xfffffe11
	v_mov_b32_e32 v1, v8
	s_add_i32 s1, s7, s1
	v_mov_b32_e32 v5, v9
	s_mul_i32 s8, s13, 0xfffffe11
	s_mul_i32 s6, s12, 0xfffffe11
	v_lshlrev_b64 v[0:1], 3, v[0:1]
	s_sub_i32 s7, s9, s12
	v_lshlrev_b64 v[4:5], 3, v[4:5]
	s_lshl_b64 s[12:13], s[0:1], 3
	s_add_i32 s7, s7, s8
	s_clause 0x1
	global_load_dwordx2 v[99:100], v[76:77], off offset:744
	global_load_dwordx2 v[97:98], v[76:77], off offset:1624
	v_add_co_u32 v0, vcc_lo, s10, v0
	v_add_co_ci_u32_e32 v1, vcc_lo, s11, v1, vcc_lo
	s_lshl_b64 s[0:1], s[6:7], 3
	v_add_co_u32 v0, vcc_lo, v0, v4
	v_add_co_ci_u32_e32 v1, vcc_lo, v1, v5, vcc_lo
	global_load_dwordx2 v[87:88], v[6:7], off offset:592
	v_add_co_u32 v4, vcc_lo, v0, s12
	v_add_co_ci_u32_e32 v5, vcc_lo, s13, v1, vcc_lo
	s_clause 0x1
	global_load_dwordx2 v[10:11], v[0:1], off
	global_load_dwordx2 v[12:13], v[4:5], off
	v_add_co_u32 v8, vcc_lo, v4, s0
	v_add_co_ci_u32_e32 v9, vcc_lo, s1, v5, vcc_lo
	s_clause 0x1
	global_load_dwordx2 v[93:94], v[2:3], off offset:456
	global_load_dwordx2 v[83:84], v[2:3], off offset:1336
	v_add_co_u32 v0, vcc_lo, v8, s12
	v_add_co_ci_u32_e32 v1, vcc_lo, s13, v9, vcc_lo
	s_clause 0x1
	global_load_dwordx2 v[8:9], v[8:9], off
	global_load_dwordx2 v[14:15], v[0:1], off
	v_add_co_u32 v2, vcc_lo, v0, s0
	v_add_co_ci_u32_e32 v3, vcc_lo, s1, v1, vcc_lo
	v_add_co_u32 v0, vcc_lo, v2, s12
	v_add_co_ci_u32_e32 v1, vcc_lo, s13, v3, vcc_lo
	global_load_dwordx2 v[2:3], v[2:3], off
	v_add_co_u32 v4, vcc_lo, v0, s0
	v_add_co_ci_u32_e32 v5, vcc_lo, s1, v1, vcc_lo
	global_load_dwordx2 v[16:17], v[0:1], off
	;; [unrolled: 3-line block ×4, first 2 shown]
	v_add_co_u32 v0, vcc_lo, v4, s12
	v_add_co_ci_u32_e32 v1, vcc_lo, s13, v5, vcc_lo
	global_load_dwordx2 v[85:86], v[6:7], off offset:1472
	global_load_dwordx2 v[6:7], v[4:5], off
	global_load_dwordx2 v[91:92], v[78:79], off offset:168
	global_load_dwordx2 v[22:23], v[0:1], off
	s_load_dwordx2 s[6:7], s[4:5], 0x38
	s_load_dwordx4 s[8:11], s[2:3], 0x0
	v_add_nc_u32_e32 v4, 0x1400, v103
	v_add_nc_u32_e32 v5, 0x400, v103
	v_cmp_gt_u16_e32 vcc_lo, 55, v28
	s_waitcnt vmcnt(13)
	v_mul_f32_e32 v26, v11, v96
	s_waitcnt vmcnt(12)
	v_mul_f32_e32 v24, v13, v100
	v_mul_f32_e32 v25, v12, v100
	;; [unrolled: 1-line block ×3, first 2 shown]
	v_fmac_f32_e32 v26, v10, v95
	v_fmac_f32_e32 v24, v12, v99
	v_fma_f32 v25, v13, v99, -v25
	v_fma_f32 v27, v11, v95, -v27
	s_waitcnt vmcnt(9)
	v_mul_f32_e32 v12, v9, v90
	v_mul_f32_e32 v29, v8, v90
	ds_write_b64 v103, v[24:25] offset:4840
	v_fmac_f32_e32 v12, v8, v89
	v_fma_f32 v13, v9, v89, -v29
	s_waitcnt vmcnt(8)
	v_mul_f32_e32 v8, v14, v98
	v_mul_f32_e32 v9, v15, v98
	ds_write2_b64 v103, v[26:27], v[12:13] offset1:110
	s_waitcnt vmcnt(7)
	v_mul_f32_e32 v12, v2, v81
	v_mul_f32_e32 v11, v3, v81
	v_fma_f32 v10, v15, v97, -v8
	v_fmac_f32_e32 v9, v14, v97
	v_fma_f32 v12, v3, v80, -v12
	s_waitcnt vmcnt(6)
	v_mul_f32_e32 v3, v16, v94
	v_fmac_f32_e32 v11, v2, v80
	v_mul_f32_e32 v2, v17, v94
	s_waitcnt vmcnt(5)
	v_mul_f32_e32 v8, v18, v88
	v_mul_f32_e32 v13, v19, v88
	v_fma_f32 v3, v17, v93, -v3
	v_fmac_f32_e32 v2, v16, v93
	s_waitcnt vmcnt(4)
	v_mul_f32_e32 v15, v21, v84
	v_fma_f32 v14, v19, v87, -v8
	v_mul_f32_e32 v8, v20, v84
	v_fmac_f32_e32 v13, v18, v87
	s_waitcnt vmcnt(2)
	v_mul_f32_e32 v17, v7, v86
	v_mul_f32_e32 v18, v6, v86
	v_fmac_f32_e32 v15, v20, v83
	s_waitcnt vmcnt(0)
	v_mul_f32_e32 v19, v23, v92
	v_mul_f32_e32 v20, v22, v92
	v_fma_f32 v16, v21, v83, -v8
	v_add_nc_u32_e32 v8, 0x1c00, v103
	v_fmac_f32_e32 v17, v6, v85
	v_fma_f32 v18, v7, v85, -v18
	v_fmac_f32_e32 v19, v22, v91
	v_fma_f32 v20, v23, v91, -v20
	ds_write2_b64 v4, v[9:10], v[2:3] offset0:75 offset1:185
	ds_write2_b64 v5, v[11:12], v[13:14] offset0:92 offset1:202
	ds_write_b64 v103, v[17:18] offset:3520
	ds_write2_b64 v8, v[15:16], v[19:20] offset0:39 offset1:149
	s_and_saveexec_b32 s2, vcc_lo
	s_cbranch_execz .LBB0_3
; %bb.2:
	v_add_co_u32 v0, s0, v0, s0
	v_add_co_ci_u32_e64 v1, s0, s1, v1, s0
	v_add_co_u32 v2, s0, v0, s12
	v_add_co_ci_u32_e64 v3, s0, s13, v1, s0
	global_load_dwordx2 v[0:1], v[0:1], off
	s_clause 0x1
	global_load_dwordx2 v[6:7], v[76:77], off offset:304
	global_load_dwordx2 v[9:10], v[78:79], off offset:1048
	global_load_dwordx2 v[2:3], v[2:3], off
	s_waitcnt vmcnt(2)
	v_mul_f32_e32 v11, v1, v7
	v_mul_f32_e32 v7, v0, v7
	s_waitcnt vmcnt(0)
	v_mul_f32_e32 v13, v3, v10
	v_mul_f32_e32 v10, v2, v10
	v_fmac_f32_e32 v11, v0, v6
	v_fma_f32 v12, v1, v6, -v7
	v_fmac_f32_e32 v13, v2, v9
	v_fma_f32 v14, v3, v9, -v10
	ds_write_b64 v103, v[11:12] offset:4400
	ds_write_b64 v103, v[13:14] offset:9240
.LBB0_3:
	s_or_b32 exec_lo, exec_lo, s2
	v_add_nc_u32_e32 v0, 0xc00, v103
	s_waitcnt lgkmcnt(0)
	s_barrier
	buffer_gl0_inv
	ds_read2_b64 v[12:15], v103 offset1:110
	ds_read2_b64 v[0:3], v0 offset0:56 offset1:221
	ds_read2_b64 v[16:19], v4 offset0:75 offset1:185
	;; [unrolled: 1-line block ×4, first 2 shown]
                                        ; implicit-def: $vgpr22
                                        ; implicit-def: $vgpr20
	s_and_saveexec_b32 s0, vcc_lo
	s_cbranch_execz .LBB0_5
; %bb.4:
	ds_read_b64 v[20:21], v103 offset:4400
	ds_read_b64 v[22:23], v103 offset:9240
.LBB0_5:
	s_or_b32 exec_lo, exec_lo, s0
	s_load_dwordx2 s[2:3], s[4:5], 0x8
	s_waitcnt lgkmcnt(0)
	v_sub_f32_e32 v30, v4, v18
	v_sub_f32_e32 v31, v5, v19
	v_add_co_u32 v39, null, 0x6e, v104
	v_add_co_u32 v38, null, 0xdc, v104
	v_sub_f32_e32 v26, v12, v2
	v_sub_f32_e32 v27, v13, v3
	v_sub_f32_e32 v16, v14, v16
	v_add_co_u32 v36, null, 0x226, v104
	v_sub_f32_e32 v17, v15, v17
	v_fma_f32 v28, v4, 2.0, -v30
	v_sub_f32_e32 v2, v0, v10
	v_fma_f32 v29, v5, 2.0, -v31
	v_sub_f32_e32 v3, v1, v11
	v_sub_f32_e32 v10, v20, v22
	;; [unrolled: 1-line block ×3, first 2 shown]
	v_lshlrev_b16 v4, 1, v104
	v_mov_b32_e32 v5, 3
	v_sub_f32_e32 v34, v6, v8
	v_sub_f32_e32 v35, v7, v9
	v_lshlrev_b32_e32 v111, 4, v104
	v_fma_f32 v24, v12, 2.0, -v26
	v_fma_f32 v25, v13, 2.0, -v27
	;; [unrolled: 1-line block ×6, first 2 shown]
	v_lshlrev_b32_sdwa v107, v5, v4 dst_sel:DWORD dst_unused:UNUSED_PAD src0_sel:DWORD src1_sel:WORD_0
	v_lshlrev_b32_e32 v109, 4, v39
	v_lshlrev_b32_e32 v110, 4, v38
	v_lshlrev_b32_e32 v108, 4, v36
	v_fma_f32 v32, v6, 2.0, -v34
	v_fma_f32 v33, v7, 2.0, -v35
	;; [unrolled: 1-line block ×4, first 2 shown]
	s_barrier
	buffer_gl0_inv
	ds_write_b128 v107, v[24:27]
	ds_write_b128 v109, v[14:17]
	;; [unrolled: 1-line block ×3, first 2 shown]
	ds_write_b128 v111, v[32:35] offset:5280
	ds_write_b128 v111, v[0:3] offset:7040
	s_and_saveexec_b32 s0, vcc_lo
	s_cbranch_execz .LBB0_7
; %bb.6:
	ds_write_b128 v108, v[8:11]
.LBB0_7:
	s_or_b32 exec_lo, exec_lo, s0
	v_add_nc_u32_e32 v0, 0x400, v103
	v_add_nc_u32_e32 v1, 0xc00, v103
	;; [unrolled: 1-line block ×4, first 2 shown]
	s_waitcnt lgkmcnt(0)
	s_barrier
	buffer_gl0_inv
	ds_read2_b64 v[12:15], v103 offset1:110
	ds_read2_b64 v[28:31], v0 offset0:114 offset1:224
	ds_read2_b64 v[24:27], v1 offset0:100 offset1:210
	;; [unrolled: 1-line block ×4, first 2 shown]
	v_cmp_gt_u16_e64 s0, 22, v104
                                        ; implicit-def: $vgpr32
                                        ; implicit-def: $vgpr36
	s_and_saveexec_b32 s1, s0
	s_cbranch_execz .LBB0_9
; %bb.8:
	v_add_nc_u32_e32 v0, 0x680, v103
	v_add_nc_u32_e32 v1, 0x1600, v103
	ds_read2_b64 v[8:11], v0 offset0:12 offset1:254
	ds_read2_b64 v[32:35], v1 offset1:242
	ds_read_b64 v[36:37], v103 offset:9504
.LBB0_9:
	s_or_b32 exec_lo, exec_lo, s1
	v_and_b32_e32 v105, 1, v104
	v_lshrrev_b32_e32 v40, 1, v104
	v_lshrrev_b32_e32 v39, 1, v39
	;; [unrolled: 1-line block ×3, first 2 shown]
	v_lshlrev_b32_e32 v0, 5, v105
	v_mul_u32_u24_e32 v40, 10, v40
	v_mul_u32_u24_e32 v39, 10, v39
	s_clause 0x1
	global_load_dwordx4 v[4:7], v0, s[2:3]
	global_load_dwordx4 v[0:3], v0, s[2:3] offset:16
	v_or_b32_e32 v38, v40, v105
	v_or_b32_e32 v39, v39, v105
	s_waitcnt vmcnt(0) lgkmcnt(0)
	s_barrier
	buffer_gl0_inv
	v_lshlrev_b32_e32 v113, 3, v38
	v_lshlrev_b32_e32 v112, 3, v39
	v_mul_f32_e32 v42, v29, v5
	v_mul_f32_e32 v43, v28, v5
	;; [unrolled: 1-line block ×24, first 2 shown]
	v_fma_f32 v28, v28, v4, -v42
	v_fmac_f32_e32 v43, v29, v4
	v_fma_f32 v24, v24, v6, -v44
	v_fmac_f32_e32 v45, v25, v6
	;; [unrolled: 2-line block ×5, first 2 shown]
	v_fma_f32 v21, v26, v6, -v52
	v_fma_f32 v26, v22, v0, -v54
	;; [unrolled: 1-line block ×4, first 2 shown]
	v_fmac_f32_e32 v41, v11, v4
	v_fma_f32 v16, v32, v6, -v61
	v_fmac_f32_e32 v40, v33, v6
	v_fma_f32 v11, v34, v0, -v62
	;; [unrolled: 2-line block ×3, first 2 shown]
	v_fmac_f32_e32 v38, v37, v2
	v_fmac_f32_e32 v53, v27, v6
	;; [unrolled: 1-line block ×4, first 2 shown]
	v_add_f32_e32 v18, v12, v28
	v_add_f32_e32 v19, v24, v25
	v_sub_f32_e32 v36, v43, v49
	v_sub_f32_e32 v22, v28, v24
	v_sub_f32_e32 v23, v42, v25
	v_add_f32_e32 v27, v28, v42
	v_sub_f32_e32 v29, v24, v28
	v_sub_f32_e32 v30, v25, v42
	v_add_f32_e32 v31, v13, v43
	v_add_f32_e32 v32, v45, v47
	v_sub_f32_e32 v37, v28, v42
	v_sub_f32_e32 v28, v43, v45
	v_add_f32_e32 v35, v43, v49
	v_sub_f32_e32 v43, v45, v43
	v_sub_f32_e32 v48, v47, v49
	;; [unrolled: 3-line block ×3, first 2 shown]
	v_add_f32_e32 v65, v15, v51
	v_add_f32_e32 v73, v16, v11
	v_sub_f32_e32 v75, v17, v16
	v_sub_f32_e32 v101, v10, v11
	v_add_f32_e32 v114, v17, v10
	v_sub_f32_e32 v102, v16, v17
	v_sub_f32_e32 v115, v11, v10
	v_add_f32_e32 v116, v40, v39
	v_add_f32_e32 v119, v41, v38
	;; [unrolled: 1-line block ×6, first 2 shown]
	v_sub_f32_e32 v46, v24, v25
	v_sub_f32_e32 v33, v49, v47
	;; [unrolled: 1-line block ×13, first 2 shown]
	v_add_f32_e32 v24, v18, v24
	v_add_f32_e32 v125, v22, v23
	v_add_f32_e32 v126, v29, v30
	v_add_f32_e32 v22, v31, v45
	v_fma_f32 v18, -0.5, v19, v12
	v_fma_f32 v19, -0.5, v32, v13
	;; [unrolled: 1-line block ×3, first 2 shown]
	v_add_f32_e32 v43, v43, v48
	v_add_f32_e32 v23, v50, v21
	;; [unrolled: 1-line block ×5, first 2 shown]
	v_fma_f32 v101, -0.5, v73, v8
	v_add_f32_e32 v60, v102, v115
	v_fma_f32 v102, -0.5, v116, v9
	v_fma_f32 v30, -0.5, v114, v8
	;; [unrolled: 1-line block ×3, first 2 shown]
	v_sub_f32_e32 v34, v45, v47
	v_fma_f32 v13, -0.5, v35, v13
	v_sub_f32_e32 v67, v20, v44
	v_sub_f32_e32 v68, v21, v26
	v_fma_f32 v20, -0.5, v52, v14
	v_fma_f32 v21, -0.5, v66, v15
	;; [unrolled: 1-line block ×3, first 2 shown]
	v_fmac_f32_e32 v15, -0.5, v71
	v_sub_f32_e32 v117, v41, v40
	v_sub_f32_e32 v118, v38, v39
	;; [unrolled: 1-line block ×4, first 2 shown]
	v_add_f32_e32 v45, v28, v33
	v_add_f32_e32 v50, v63, v64
	;; [unrolled: 1-line block ×4, first 2 shown]
	v_fmamk_f32 v22, v36, 0x3f737871, v18
	v_add_f32_e32 v63, v23, v26
	v_fmamk_f32 v23, v37, 0xbf737871, v19
	v_fmamk_f32 v72, v74, 0x3f737871, v101
	v_fmac_f32_e32 v101, 0xbf737871, v74
	v_fmamk_f32 v28, v122, 0xbf737871, v30
	v_fmac_f32_e32 v30, 0x3f737871, v122
	;; [unrolled: 2-line block ×4, first 2 shown]
	v_add_f32_e32 v35, v24, v25
	v_fmamk_f32 v24, v34, 0xbf737871, v12
	v_fmac_f32_e32 v12, 0x3f737871, v34
	v_fmamk_f32 v25, v46, 0x3f737871, v13
	v_fmac_f32_e32 v13, 0xbf737871, v46
	v_fmac_f32_e32 v18, 0xbf737871, v36
	;; [unrolled: 1-line block ×3, first 2 shown]
	v_sub_f32_e32 v70, v59, v55
	v_add_f32_e32 v55, v27, v55
	v_fmamk_f32 v26, v54, 0x3f737871, v20
	v_fmamk_f32 v27, v67, 0xbf737871, v21
	v_fmamk_f32 v32, v58, 0xbf737871, v14
	v_fmac_f32_e32 v14, 0x3f737871, v58
	v_fmamk_f32 v33, v68, 0x3f737871, v15
	v_fmac_f32_e32 v15, 0xbf737871, v68
	v_add_f32_e32 v61, v117, v118
	v_add_f32_e32 v62, v120, v121
	v_fmac_f32_e32 v20, 0xbf737871, v54
	v_fmac_f32_e32 v21, 0x3f737871, v67
	;; [unrolled: 1-line block ×18, first 2 shown]
	v_add_f32_e32 v52, v69, v70
	v_fmac_f32_e32 v26, 0x3f167918, v58
	v_fmac_f32_e32 v27, 0xbf167918, v68
	;; [unrolled: 1-line block ×6, first 2 shown]
	v_add_f32_e32 v34, v35, v42
	v_add_f32_e32 v35, v47, v49
	v_fmac_f32_e32 v20, 0xbf167918, v58
	v_fmac_f32_e32 v21, 0x3f167918, v68
	;; [unrolled: 1-line block ×18, first 2 shown]
	v_add_f32_e32 v36, v63, v44
	v_add_f32_e32 v37, v55, v59
	v_fmac_f32_e32 v26, 0x3e9e377a, v48
	v_fmac_f32_e32 v27, 0x3e9e377a, v52
	;; [unrolled: 1-line block ×8, first 2 shown]
	ds_write2_b64 v113, v[34:35], v[22:23] offset1:2
	ds_write2_b64 v113, v[24:25], v[12:13] offset0:4 offset1:6
	ds_write_b64 v113, v[18:19] offset:64
	ds_write2_b64 v112, v[36:37], v[26:27] offset1:2
	ds_write2_b64 v112, v[32:33], v[14:15] offset0:4 offset1:6
	ds_write_b64 v112, v[20:21] offset:64
	s_and_saveexec_b32 s1, s0
	s_cbranch_execz .LBB0_11
; %bb.10:
	v_add_f32_e32 v9, v9, v41
	v_add_f32_e32 v8, v8, v17
	v_mul_u32_u24_e32 v12, 10, v106
	v_add_f32_e32 v9, v9, v40
	v_add_f32_e32 v8, v8, v16
	v_or_b32_e32 v12, v12, v105
	v_add_f32_e32 v9, v9, v39
	v_add_f32_e32 v8, v8, v11
	v_lshlrev_b32_e32 v11, 3, v12
	v_add_f32_e32 v9, v9, v38
	v_add_f32_e32 v8, v8, v10
	ds_write2_b64 v11, v[28:29], v[30:31] offset0:4 offset1:6
	ds_write2_b64 v11, v[8:9], v[72:73] offset1:2
	ds_write_b64 v11, v[101:102] offset:64
.LBB0_11:
	s_or_b32 exec_lo, exec_lo, s1
	v_and_b32_e32 v8, 0xff, v104
	s_waitcnt lgkmcnt(0)
	s_barrier
	buffer_gl0_inv
	v_add_nc_u32_e32 v58, 0x400, v103
	v_mul_lo_u16 v8, 0xcd, v8
	v_add_nc_u32_e32 v64, 0xc00, v103
	v_add_nc_u32_e32 v59, 0x1400, v103
	v_mov_b32_e32 v50, 0x6e
	v_add_nc_u32_e32 v60, 0x1800, v103
	v_lshrrev_b16 v49, 11, v8
	v_mad_u64_u32 v[61:62], null, 0x50, v104, s[2:3]
	v_mul_lo_u16 v8, v49, 10
	v_mul_u32_u24_sdwa v55, v49, v50 dst_sel:DWORD dst_unused:UNUSED_PAD src0_sel:WORD_0 src1_sel:DWORD
	v_sub_nc_u16 v8, v104, v8
	v_and_b32_e32 v40, 0xff, v8
	v_mad_u64_u32 v[16:17], null, 0x50, v40, s[2:3]
	v_add_lshl_u32 v114, v55, v40, 3
	s_clause 0x4
	global_load_dwordx4 v[24:27], v[16:17], off offset:64
	global_load_dwordx4 v[20:23], v[16:17], off offset:80
	;; [unrolled: 1-line block ×5, first 2 shown]
	ds_read2_b64 v[32:35], v103 offset1:110
	ds_read2_b64 v[36:39], v58 offset0:92 offset1:202
	ds_read2_b64 v[41:44], v64 offset0:56 offset1:166
	;; [unrolled: 1-line block ×3, first 2 shown]
	ds_read_b64 v[53:54], v103 offset:8800
	ds_read2_b64 v[49:52], v60 offset0:112 offset1:222
	s_waitcnt vmcnt(0) lgkmcnt(0)
	s_barrier
	buffer_gl0_inv
	v_mul_f32_e32 v40, v35, v25
	v_mul_f32_e32 v55, v34, v25
	;; [unrolled: 1-line block ×11, first 2 shown]
	v_fma_f32 v34, v34, v24, -v40
	v_fmac_f32_e32 v55, v35, v24
	v_mul_f32_e32 v67, v38, v21
	v_mul_f32_e32 v68, v42, v23
	;; [unrolled: 1-line block ×9, first 2 shown]
	v_fma_f32 v35, v36, v26, -v63
	v_fmac_f32_e32 v65, v37, v26
	v_fma_f32 v36, v38, v20, -v66
	v_fmac_f32_e32 v69, v42, v22
	;; [unrolled: 2-line block ×3, first 2 shown]
	v_fma_f32 v50, v51, v16, -v119
	v_fma_f32 v53, v53, v18, -v121
	v_fmac_f32_e32 v122, v54, v18
	v_add_f32_e32 v42, v32, v34
	v_add_f32_e32 v43, v33, v55
	v_fmac_f32_e32 v67, v39, v20
	v_fma_f32 v37, v41, v22, -v68
	v_fmac_f32_e32 v71, v44, v12
	v_fma_f32 v39, v45, v14, -v74
	v_fmac_f32_e32 v75, v46, v14
	v_fma_f32 v40, v47, v8, -v115
	v_fmac_f32_e32 v116, v48, v8
	v_fma_f32 v41, v49, v10, -v117
	v_fmac_f32_e32 v120, v52, v16
	v_add_f32_e32 v44, v34, v53
	v_sub_f32_e32 v34, v34, v53
	v_sub_f32_e32 v46, v55, v122
	v_add_f32_e32 v47, v35, v50
	v_sub_f32_e32 v49, v35, v50
	v_add_f32_e32 v35, v42, v35
	v_add_f32_e32 v42, v43, v65
	;; [unrolled: 1-line block ×4, first 2 shown]
	v_sub_f32_e32 v51, v65, v120
	v_add_f32_e32 v52, v36, v41
	v_sub_f32_e32 v55, v36, v41
	v_sub_f32_e32 v63, v67, v118
	;; [unrolled: 1-line block ×6, first 2 shown]
	v_mul_f32_e32 v43, 0xbf0a6770, v46
	v_mul_f32_e32 v65, 0xbf0a6770, v34
	;; [unrolled: 1-line block ×9, first 2 shown]
	v_add_f32_e32 v35, v35, v36
	v_add_f32_e32 v36, v42, v67
	v_mul_f32_e32 v46, 0xbe903f40, v46
	v_add_f32_e32 v54, v67, v118
	v_add_f32_e32 v68, v37, v40
	v_add_f32_e32 v74, v69, v116
	v_add_f32_e32 v117, v38, v39
	v_add_f32_e32 v121, v71, v75
	v_mul_f32_e32 v129, 0xbf68dda4, v51
	v_mul_f32_e32 v130, 0xbf68dda4, v49
	;; [unrolled: 1-line block ×40, first 2 shown]
	v_fma_f32 v42, 0x3f575c64, v44, -v43
	v_fmamk_f32 v67, v45, 0x3f575c64, v65
	v_fmac_f32_e32 v43, 0x3f575c64, v44
	v_fma_f32 v65, 0x3f575c64, v45, -v65
	v_fma_f32 v161, 0x3ed4b147, v44, -v123
	v_fmamk_f32 v162, v45, 0x3ed4b147, v124
	v_fmac_f32_e32 v123, 0x3ed4b147, v44
	v_fma_f32 v124, 0x3ed4b147, v45, -v124
	;; [unrolled: 4-line block ×4, first 2 shown]
	v_fmamk_f32 v168, v45, 0xbf75a155, v34
	v_fma_f32 v34, 0xbf75a155, v45, -v34
	v_add_f32_e32 v35, v35, v37
	v_add_f32_e32 v36, v36, v69
	v_fma_f32 v167, 0xbf75a155, v44, -v46
	v_fmac_f32_e32 v46, 0xbf75a155, v44
	v_fma_f32 v44, 0x3ed4b147, v47, -v129
	v_fmamk_f32 v45, v48, 0x3ed4b147, v130
	v_fmac_f32_e32 v129, 0x3ed4b147, v47
	v_fma_f32 v130, 0x3ed4b147, v48, -v130
	v_fma_f32 v169, 0xbf27a4f4, v47, -v131
	v_fmamk_f32 v170, v48, 0xbf27a4f4, v132
	v_fmac_f32_e32 v131, 0xbf27a4f4, v47
	v_fma_f32 v132, 0xbf27a4f4, v48, -v132
	;; [unrolled: 4-line block ×9, first 2 shown]
	v_fma_f32 v183, 0xbf27a4f4, v52, -v63
	v_fmac_f32_e32 v63, 0xbf27a4f4, v52
	v_fmamk_f32 v52, v54, 0xbf27a4f4, v55
	v_fma_f32 v54, 0xbf27a4f4, v54, -v55
	v_fma_f32 v55, 0xbf27a4f4, v68, -v145
	v_fmac_f32_e32 v145, 0xbf27a4f4, v68
	v_fma_f32 v184, 0xbe11bafb, v68, -v146
	v_fmac_f32_e32 v146, 0xbe11bafb, v68
	;; [unrolled: 2-line block ×5, first 2 shown]
	v_fmamk_f32 v68, v74, 0xbf27a4f4, v149
	v_fma_f32 v149, 0xbf27a4f4, v74, -v149
	v_fmamk_f32 v188, v74, 0xbe11bafb, v150
	v_fma_f32 v150, 0xbe11bafb, v74, -v150
	;; [unrolled: 2-line block ×5, first 2 shown]
	v_fma_f32 v74, 0xbf75a155, v117, -v153
	v_fmac_f32_e32 v153, 0xbf75a155, v117
	v_fma_f32 v192, 0x3f575c64, v117, -v154
	v_fmac_f32_e32 v154, 0x3f575c64, v117
	;; [unrolled: 2-line block ×5, first 2 shown]
	v_fmamk_f32 v117, v121, 0xbf75a155, v157
	v_fma_f32 v157, 0xbf75a155, v121, -v157
	v_fmamk_f32 v196, v121, 0x3f575c64, v158
	v_fma_f32 v158, 0x3f575c64, v121, -v158
	;; [unrolled: 2-line block ×5, first 2 shown]
	v_add_f32_e32 v42, v32, v42
	v_add_f32_e32 v67, v33, v67
	;; [unrolled: 1-line block ×110, first 2 shown]
	ds_write2_b64 v114, v[36:37], v[40:41] offset0:20 offset1:30
	v_add_f32_e32 v36, v52, v53
	v_add_f32_e32 v37, v54, v122
	ds_write2_b64 v114, v[44:45], v[48:49] offset0:40 offset1:50
	ds_write2_b64 v114, v[50:51], v[46:47] offset0:60 offset1:70
	;; [unrolled: 1-line block ×3, first 2 shown]
	ds_write_b64 v114, v[34:35] offset:800
	ds_write2_b64 v114, v[36:37], v[32:33] offset1:10
	s_waitcnt lgkmcnt(0)
	s_barrier
	buffer_gl0_inv
	s_clause 0x4
	global_load_dwordx4 v[48:51], v[61:62], off offset:864
	global_load_dwordx4 v[44:47], v[61:62], off offset:880
	global_load_dwordx4 v[36:39], v[61:62], off offset:896
	global_load_dwordx4 v[32:35], v[61:62], off offset:912
	global_load_dwordx4 v[40:43], v[61:62], off offset:928
	ds_read2_b64 v[52:55], v103 offset1:110
	ds_read2_b64 v[116:119], v58 offset0:92 offset1:202
	ds_read2_b64 v[120:123], v64 offset0:56 offset1:166
	;; [unrolled: 1-line block ×4, first 2 shown]
	ds_read_b64 v[132:133], v103 offset:8800
	s_waitcnt vmcnt(4) lgkmcnt(5)
	v_mul_f32_e32 v66, v55, v49
	v_mul_f32_e32 v134, v54, v49
	s_waitcnt lgkmcnt(4)
	v_mul_f32_e32 v68, v117, v51
	v_mul_f32_e32 v135, v116, v51
	s_waitcnt vmcnt(3)
	v_mul_f32_e32 v71, v119, v45
	s_waitcnt vmcnt(0) lgkmcnt(0)
	v_mul_f32_e32 v141, v133, v43
	v_mul_f32_e32 v62, v132, v43
	v_fma_f32 v142, v54, v48, -v66
	v_fmac_f32_e32 v134, v55, v48
	v_mul_f32_e32 v115, v118, v45
	v_mul_f32_e32 v74, v121, v47
	;; [unrolled: 1-line block ×13, first 2 shown]
	v_fma_f32 v143, v116, v50, -v68
	v_fmac_f32_e32 v135, v117, v50
	v_fma_f32 v116, v118, v44, -v71
	v_fma_f32 v54, v132, v42, -v141
	v_fmac_f32_e32 v62, v133, v42
	v_add_f32_e32 v117, v52, v142
	v_add_f32_e32 v118, v53, v134
	v_fmac_f32_e32 v115, v119, v44
	v_fma_f32 v75, v120, v46, -v74
	v_fmac_f32_e32 v70, v121, v46
	v_fma_f32 v74, v122, v36, -v136
	;; [unrolled: 2-line block ×6, first 2 shown]
	v_fmac_f32_e32 v61, v131, v40
	v_sub_f32_e32 v121, v142, v54
	v_sub_f32_e32 v122, v134, v62
	v_add_f32_e32 v117, v117, v143
	v_add_f32_e32 v118, v118, v135
	;; [unrolled: 1-line block ×5, first 2 shown]
	v_sub_f32_e32 v125, v143, v55
	v_sub_f32_e32 v126, v135, v61
	;; [unrolled: 1-line block ×3, first 2 shown]
	v_add_f32_e32 v128, v116, v66
	v_sub_f32_e32 v129, v116, v66
	v_add_f32_e32 v130, v115, v63
	v_sub_f32_e32 v131, v70, v65
	v_sub_f32_e32 v133, v75, v68
	;; [unrolled: 1-line block ×4, first 2 shown]
	v_mul_f32_e32 v135, 0xbf0a6770, v122
	v_mul_f32_e32 v140, 0xbf0a6770, v121
	v_add_f32_e32 v116, v117, v116
	v_add_f32_e32 v115, v118, v115
	;; [unrolled: 1-line block ×7, first 2 shown]
	v_mul_f32_e32 v141, 0xbf68dda4, v122
	v_mul_f32_e32 v142, 0xbf68dda4, v121
	;; [unrolled: 1-line block ×48, first 2 shown]
	v_fma_f32 v179, 0x3f575c64, v119, -v135
	v_fmamk_f32 v180, v120, 0x3f575c64, v140
	v_add_f32_e32 v75, v116, v75
	v_add_f32_e32 v70, v115, v70
	v_fmac_f32_e32 v135, 0x3f575c64, v119
	v_fma_f32 v140, 0x3f575c64, v120, -v140
	v_fma_f32 v181, 0x3ed4b147, v119, -v141
	v_fmamk_f32 v182, v120, 0x3ed4b147, v142
	v_fmac_f32_e32 v141, 0x3ed4b147, v119
	v_fma_f32 v142, 0x3ed4b147, v120, -v142
	v_fma_f32 v183, 0xbe11bafb, v119, -v143
	v_fmamk_f32 v184, v120, 0xbe11bafb, v144
	;; [unrolled: 4-line block ×6, first 2 shown]
	v_fmac_f32_e32 v149, 0xbf27a4f4, v123
	v_fma_f32 v150, 0xbf27a4f4, v124, -v150
	v_fma_f32 v191, 0xbf75a155, v123, -v151
	v_fmac_f32_e32 v151, 0xbf75a155, v123
	v_fma_f32 v192, 0xbe11bafb, v123, -v153
	v_fmac_f32_e32 v153, 0xbe11bafb, v123
	;; [unrolled: 2-line block ×3, first 2 shown]
	v_fmamk_f32 v123, v124, 0xbf75a155, v152
	v_fma_f32 v152, 0xbf75a155, v124, -v152
	v_fmamk_f32 v194, v124, 0xbe11bafb, v154
	v_fma_f32 v154, 0xbe11bafb, v124, -v154
	v_fmamk_f32 v195, v124, 0x3f575c64, v125
	v_fma_f32 v124, 0x3f575c64, v124, -v125
	v_fma_f32 v125, 0xbe11bafb, v128, -v155
	v_fmac_f32_e32 v155, 0xbe11bafb, v128
	v_fma_f32 v196, 0xbf75a155, v128, -v156
	v_fmac_f32_e32 v156, 0xbf75a155, v128
	v_fma_f32 v197, 0x3ed4b147, v128, -v157
	v_fmac_f32_e32 v157, 0x3ed4b147, v128
	v_fma_f32 v198, 0x3f575c64, v128, -v158
	v_fmac_f32_e32 v158, 0x3f575c64, v128
	v_fma_f32 v199, 0xbf27a4f4, v128, -v127
	v_fmac_f32_e32 v127, 0xbf27a4f4, v128
	v_fmamk_f32 v117, v130, 0xbe11bafb, v159
	v_fma_f32 v118, 0xbe11bafb, v130, -v159
	v_fmamk_f32 v128, v130, 0xbf75a155, v160
	v_fma_f32 v159, 0xbf75a155, v130, -v160
	v_fmamk_f32 v160, v130, 0x3ed4b147, v161
	v_fma_f32 v161, 0x3ed4b147, v130, -v161
	v_fmamk_f32 v200, v130, 0x3f575c64, v162
	v_fma_f32 v162, 0x3f575c64, v130, -v162
	v_fmamk_f32 v201, v130, 0xbf27a4f4, v129
	v_fma_f32 v129, 0xbf27a4f4, v130, -v129
	v_fma_f32 v130, 0xbf27a4f4, v132, -v163
	v_fmac_f32_e32 v163, 0xbf27a4f4, v132
	v_fma_f32 v202, 0xbe11bafb, v132, -v164
	v_fmac_f32_e32 v164, 0xbe11bafb, v132
	v_fma_f32 v203, 0x3f575c64, v132, -v165
	v_fmac_f32_e32 v165, 0x3f575c64, v132
	v_fma_f32 v204, 0xbf75a155, v132, -v166
	v_fmac_f32_e32 v166, 0xbf75a155, v132
	v_fma_f32 v205, 0x3ed4b147, v132, -v131
	v_fmac_f32_e32 v131, 0x3ed4b147, v132
	v_fmamk_f32 v132, v134, 0xbf27a4f4, v167
	v_fma_f32 v167, 0xbf27a4f4, v134, -v167
	v_fmamk_f32 v206, v134, 0xbe11bafb, v168
	v_fma_f32 v168, 0xbe11bafb, v134, -v168
	;; [unrolled: 20-line block ×3, first 2 shown]
	v_fmamk_f32 v215, v139, 0xbf27a4f4, v177
	v_fma_f32 v177, 0xbf27a4f4, v139, -v177
	v_fmamk_f32 v216, v139, 0x3ed4b147, v178
	v_fma_f32 v178, 0x3ed4b147, v139, -v178
	v_fmamk_f32 v217, v139, 0xbe11bafb, v138
	v_fma_f32 v138, 0xbe11bafb, v139, -v138
	v_add_f32_e32 v139, v52, v179
	v_add_f32_e32 v179, v53, v180
	;; [unrolled: 1-line block ×112, first 2 shown]
	ds_write2_b64 v103, v[54:55], v[52:53] offset1:110
	ds_write2_b64 v58, v[65:66], v[69:70] offset0:92 offset1:202
	ds_write2_b64 v64, v[117:118], v[61:62] offset0:56 offset1:166
	;; [unrolled: 1-line block ×4, first 2 shown]
	ds_write_b64 v103, v[74:75] offset:8800
	s_waitcnt lgkmcnt(0)
	s_barrier
	buffer_gl0_inv
	global_load_dwordx2 v[61:62], v[78:79], off offset:1488
	v_add_co_u32 v52, s1, 0x25d0, v56
	v_add_co_ci_u32_e64 v53, s1, 0, v57, s1
	v_add_co_u32 v54, s1, 0x3800, v56
	v_add_co_ci_u32_e64 v55, s1, 0, v57, s1
	global_load_dwordx2 v[70:71], v[52:53], off offset:880
	v_add_co_u32 v65, s1, 0x3000, v56
	v_add_co_ci_u32_e64 v66, s1, 0, v57, s1
	v_add_co_u32 v56, s1, 0x4000, v56
	s_clause 0x2
	global_load_dwordx2 v[127:128], v[54:55], off offset:1064
	global_load_dwordx2 v[129:130], v[54:55], off offset:184
	;; [unrolled: 1-line block ×3, first 2 shown]
	v_add_co_ci_u32_e64 v57, s1, 0, v57, s1
	s_clause 0x4
	global_load_dwordx2 v[133:134], v[54:55], off offset:1944
	global_load_dwordx2 v[135:136], v[65:66], off offset:32
	;; [unrolled: 1-line block ×5, first 2 shown]
	ds_read2_b64 v[54:57], v103 offset1:110
	s_waitcnt vmcnt(9) lgkmcnt(0)
	v_mul_f32_e32 v65, v55, v62
	v_mul_f32_e32 v63, v54, v62
	v_fma_f32 v62, v54, v61, -v65
	v_fmac_f32_e32 v63, v55, v61
	v_add_nc_u32_e32 v65, 0x1c00, v103
	s_waitcnt vmcnt(8)
	v_mul_f32_e32 v54, v57, v71
	v_mul_f32_e32 v55, v56, v71
	ds_write_b64 v103, v[62:63]
	ds_read2_b64 v[66:69], v64 offset0:56 offset1:221
	ds_read2_b64 v[115:118], v59 offset0:75 offset1:185
	;; [unrolled: 1-line block ×4, first 2 shown]
	v_fma_f32 v54, v56, v70, -v54
	v_fmac_f32_e32 v55, v57, v70
	v_add_nc_u32_e32 v63, 0x1000, v103
	v_add_nc_u32_e32 v71, 0x800, v103
	s_waitcnt vmcnt(6) lgkmcnt(3)
	v_mul_f32_e32 v56, v69, v130
	v_mul_f32_e32 v57, v68, v130
	s_waitcnt lgkmcnt(2)
	v_mul_f32_e32 v61, v116, v128
	v_mul_f32_e32 v62, v115, v128
	s_waitcnt vmcnt(5) lgkmcnt(1)
	v_mul_f32_e32 v143, v120, v132
	v_mul_f32_e32 v70, v119, v132
	s_waitcnt vmcnt(4)
	v_mul_f32_e32 v144, v118, v134
	v_mul_f32_e32 v128, v117, v134
	s_waitcnt vmcnt(2) lgkmcnt(0)
	v_mul_f32_e32 v146, v124, v138
	v_mul_f32_e32 v132, v123, v138
	;; [unrolled: 1-line block ×4, first 2 shown]
	s_waitcnt vmcnt(1)
	v_mul_f32_e32 v138, v67, v140
	v_mul_f32_e32 v134, v66, v140
	s_waitcnt vmcnt(0)
	v_mul_f32_e32 v140, v126, v142
	v_mul_f32_e32 v136, v125, v142
	v_fma_f32 v56, v68, v129, -v56
	v_fmac_f32_e32 v57, v69, v129
	v_fma_f32 v61, v115, v127, -v61
	v_fmac_f32_e32 v62, v116, v127
	;; [unrolled: 2-line block ×8, first 2 shown]
	ds_write2_b64 v63, v[56:57], v[61:62] offset0:93 offset1:203
	ds_write2_b64 v103, v[54:55], v[69:70] offset0:110 offset1:220
	;; [unrolled: 1-line block ×4, first 2 shown]
	ds_write_b64 v103, v[135:136] offset:8360
	s_and_saveexec_b32 s2, vcc_lo
	s_cbranch_execz .LBB0_13
; %bb.12:
	v_add_co_u32 v54, s1, 0x1000, v52
	v_add_co_ci_u32_e64 v55, s1, 0, v53, s1
	v_add_co_u32 v52, s1, 0x2000, v52
	v_add_co_ci_u32_e64 v53, s1, 0, v53, s1
	s_clause 0x1
	global_load_dwordx2 v[54:55], v[54:55], off offset:304
	global_load_dwordx2 v[52:53], v[52:53], off offset:1048
	ds_read_b64 v[56:57], v103 offset:4400
	ds_read_b64 v[60:61], v103 offset:9240
	s_waitcnt vmcnt(1) lgkmcnt(1)
	v_mul_f32_e32 v62, v57, v55
	v_mul_f32_e32 v63, v56, v55
	s_waitcnt vmcnt(0) lgkmcnt(0)
	v_mul_f32_e32 v66, v61, v53
	v_mul_f32_e32 v55, v60, v53
	v_fma_f32 v62, v56, v54, -v62
	v_fmac_f32_e32 v63, v57, v54
	v_fma_f32 v54, v60, v52, -v66
	v_fmac_f32_e32 v55, v61, v52
	ds_write_b64 v103, v[62:63] offset:4400
	ds_write_b64 v103, v[54:55] offset:9240
.LBB0_13:
	s_or_b32 exec_lo, exec_lo, s2
	s_waitcnt lgkmcnt(0)
	s_barrier
	buffer_gl0_inv
	ds_read2_b64 v[60:63], v103 offset1:110
	ds_read2_b64 v[52:55], v64 offset0:56 offset1:221
	ds_read2_b64 v[68:71], v59 offset0:75 offset1:185
	;; [unrolled: 1-line block ×4, first 2 shown]
	v_add_nc_u32_e32 v115, 0x14a0, v111
	v_add_nc_u32_e32 v111, 0x1b80, v111
	s_and_saveexec_b32 s1, vcc_lo
	s_cbranch_execz .LBB0_15
; %bb.14:
	ds_read_b64 v[74:75], v103 offset:4400
	ds_read_b64 v[72:73], v103 offset:9240
.LBB0_15:
	s_or_b32 exec_lo, exec_lo, s1
	s_waitcnt lgkmcnt(3)
	v_sub_f32_e32 v118, v60, v54
	v_sub_f32_e32 v119, v61, v55
	s_waitcnt lgkmcnt(2)
	v_sub_f32_e32 v122, v62, v68
	v_sub_f32_e32 v123, v63, v69
	s_waitcnt lgkmcnt(0)
	v_sub_f32_e32 v54, v74, v72
	v_fma_f32 v116, v60, 2.0, -v118
	v_fma_f32 v117, v61, 2.0, -v119
	v_sub_f32_e32 v60, v58, v64
	v_sub_f32_e32 v61, v59, v65
	v_sub_f32_e32 v64, v52, v66
	v_sub_f32_e32 v65, v53, v67
	v_sub_f32_e32 v55, v75, v73
	v_sub_f32_e32 v70, v56, v70
	v_sub_f32_e32 v71, v57, v71
	v_fma_f32 v120, v62, 2.0, -v122
	v_fma_f32 v121, v63, 2.0, -v123
	v_fma_f32 v62, v52, 2.0, -v64
	v_fma_f32 v63, v53, 2.0, -v65
	v_fma_f32 v52, v74, 2.0, -v54
	v_fma_f32 v53, v75, 2.0, -v55
	v_fma_f32 v68, v56, 2.0, -v70
	v_fma_f32 v69, v57, 2.0, -v71
	v_fma_f32 v58, v58, 2.0, -v60
	v_fma_f32 v59, v59, 2.0, -v61
	s_barrier
	buffer_gl0_inv
	ds_write_b128 v107, v[116:119]
	ds_write_b128 v109, v[120:123]
	;; [unrolled: 1-line block ×5, first 2 shown]
	s_and_saveexec_b32 s1, vcc_lo
	s_cbranch_execz .LBB0_17
; %bb.16:
	ds_write_b128 v108, v[52:55]
.LBB0_17:
	s_or_b32 exec_lo, exec_lo, s1
	v_add_nc_u32_e32 v60, 0x400, v103
	v_add_nc_u32_e32 v61, 0xc00, v103
	v_add_nc_u32_e32 v62, 0x1400, v103
	v_add_nc_u32_e32 v63, 0x1c00, v103
	s_waitcnt lgkmcnt(0)
	s_barrier
	buffer_gl0_inv
	ds_read2_b64 v[56:59], v103 offset1:110
	ds_read2_b64 v[72:75], v60 offset0:114 offset1:224
	ds_read2_b64 v[68:71], v61 offset0:100 offset1:210
	;; [unrolled: 1-line block ×4, first 2 shown]
	s_and_saveexec_b32 s1, s0
	s_cbranch_execz .LBB0_19
; %bb.18:
	v_add_nc_u32_e32 v28, 0x680, v103
	v_add_nc_u32_e32 v29, 0x1600, v103
	ds_read2_b64 v[52:55], v28 offset0:12 offset1:254
	ds_read2_b64 v[28:31], v29 offset1:242
	ds_read_b64 v[101:102], v103 offset:9504
.LBB0_19:
	s_or_b32 exec_lo, exec_lo, s1
	s_waitcnt lgkmcnt(3)
	v_mul_f32_e32 v107, v5, v73
	v_mul_f32_e32 v108, v5, v72
	s_waitcnt lgkmcnt(2)
	v_mul_f32_e32 v109, v7, v69
	s_waitcnt lgkmcnt(0)
	v_mul_f32_e32 v111, v3, v61
	v_mul_f32_e32 v110, v7, v68
	v_fmac_f32_e32 v107, v4, v72
	v_fma_f32 v72, v4, v73, -v108
	v_mul_f32_e32 v73, v1, v65
	v_mul_f32_e32 v108, v1, v64
	v_fmac_f32_e32 v109, v6, v68
	v_fmac_f32_e32 v111, v2, v60
	v_mul_f32_e32 v60, v3, v60
	v_fmac_f32_e32 v73, v0, v64
	v_mul_f32_e32 v64, v5, v74
	v_fma_f32 v68, v6, v69, -v110
	v_fma_f32 v69, v0, v65, -v108
	v_mul_f32_e32 v65, v7, v70
	v_fma_f32 v115, v2, v61, -v60
	v_fma_f32 v116, v4, v75, -v64
	v_add_f32_e32 v60, v109, v73
	v_mul_f32_e32 v61, v1, v66
	v_add_f32_e32 v64, v56, v107
	v_mul_f32_e32 v108, v5, v75
	v_mul_f32_e32 v110, v7, v71
	v_fma_f32 v117, v6, v71, -v65
	v_mul_f32_e32 v75, v1, v67
	v_mul_f32_e32 v71, v3, v63
	v_fma_f32 v60, -0.5, v60, v56
	v_sub_f32_e32 v65, v72, v115
	v_fma_f32 v118, v0, v67, -v61
	v_add_f32_e32 v61, v64, v109
	v_fmac_f32_e32 v108, v4, v74
	v_fmac_f32_e32 v110, v6, v70
	;; [unrolled: 1-line block ×4, first 2 shown]
	v_fmamk_f32 v64, v65, 0xbf737871, v60
	v_sub_f32_e32 v67, v68, v69
	v_sub_f32_e32 v66, v107, v109
	;; [unrolled: 1-line block ×3, first 2 shown]
	v_add_f32_e32 v74, v107, v111
	v_mul_f32_e32 v62, v3, v62
	v_add_f32_e32 v61, v61, v73
	v_fmac_f32_e32 v60, 0x3f737871, v65
	v_fmac_f32_e32 v64, 0xbf167918, v67
	v_add_f32_e32 v70, v66, v70
	v_fma_f32 v56, -0.5, v74, v56
	v_fma_f32 v119, v2, v63, -v62
	v_add_f32_e32 v62, v61, v111
	v_sub_f32_e32 v61, v109, v107
	v_sub_f32_e32 v63, v73, v111
	v_fmac_f32_e32 v60, 0x3f167918, v67
	v_add_f32_e32 v74, v57, v72
	v_add_f32_e32 v120, v68, v69
	v_fmac_f32_e32 v64, 0x3e9e377a, v70
	v_fmamk_f32 v66, v67, 0x3f737871, v56
	v_add_f32_e32 v63, v61, v63
	v_fmac_f32_e32 v56, 0xbf737871, v67
	v_add_f32_e32 v67, v74, v68
	v_fma_f32 v61, -0.5, v120, v57
	v_sub_f32_e32 v74, v107, v111
	v_fmac_f32_e32 v60, 0x3e9e377a, v70
	v_add_f32_e32 v70, v72, v115
	v_fmac_f32_e32 v66, 0xbf167918, v65
	v_fmac_f32_e32 v56, 0x3f167918, v65
	v_add_f32_e32 v67, v67, v69
	v_fmamk_f32 v65, v74, 0x3f737871, v61
	v_sub_f32_e32 v73, v109, v73
	v_sub_f32_e32 v107, v72, v68
	;; [unrolled: 1-line block ×3, first 2 shown]
	v_fma_f32 v57, -0.5, v70, v57
	v_fmac_f32_e32 v61, 0xbf737871, v74
	v_sub_f32_e32 v68, v68, v72
	v_sub_f32_e32 v69, v69, v115
	v_add_f32_e32 v72, v110, v75
	v_fmac_f32_e32 v66, 0x3e9e377a, v63
	v_fmac_f32_e32 v56, 0x3e9e377a, v63
	v_add_f32_e32 v63, v67, v115
	v_fmac_f32_e32 v65, 0x3f167918, v73
	v_add_f32_e32 v70, v107, v109
	v_fmamk_f32 v67, v73, 0xbf737871, v57
	v_fmac_f32_e32 v61, 0xbf167918, v73
	v_add_f32_e32 v69, v68, v69
	v_fmac_f32_e32 v57, 0x3f737871, v73
	v_add_f32_e32 v73, v58, v108
	v_fma_f32 v68, -0.5, v72, v58
	v_sub_f32_e32 v107, v116, v119
	v_fmac_f32_e32 v65, 0x3e9e377a, v70
	v_fmac_f32_e32 v67, 0x3f167918, v74
	;; [unrolled: 1-line block ×4, first 2 shown]
	v_add_f32_e32 v72, v73, v110
	v_fmamk_f32 v70, v107, 0xbf737871, v68
	v_sub_f32_e32 v73, v117, v118
	v_sub_f32_e32 v74, v108, v110
	;; [unrolled: 1-line block ×3, first 2 shown]
	v_fmac_f32_e32 v68, 0x3f737871, v107
	v_add_f32_e32 v111, v108, v71
	v_fmac_f32_e32 v70, 0xbf167918, v73
	v_fmac_f32_e32 v67, 0x3e9e377a, v69
	v_add_f32_e32 v74, v74, v109
	v_fmac_f32_e32 v68, 0x3f167918, v73
	v_fma_f32 v58, -0.5, v111, v58
	v_fmac_f32_e32 v57, 0x3e9e377a, v69
	v_add_f32_e32 v69, v117, v118
	v_fmac_f32_e32 v70, 0x3e9e377a, v74
	v_fmac_f32_e32 v68, 0x3e9e377a, v74
	v_fmamk_f32 v74, v73, 0x3f737871, v58
	v_fmac_f32_e32 v58, 0xbf737871, v73
	v_sub_f32_e32 v109, v110, v108
	v_sub_f32_e32 v111, v75, v71
	v_add_f32_e32 v72, v72, v75
	v_fmac_f32_e32 v74, 0xbf167918, v107
	v_fmac_f32_e32 v58, 0x3f167918, v107
	v_add_f32_e32 v107, v116, v119
	v_add_f32_e32 v73, v59, v116
	v_fma_f32 v69, -0.5, v69, v59
	v_sub_f32_e32 v108, v108, v71
	v_add_f32_e32 v109, v109, v111
	v_sub_f32_e32 v110, v110, v75
	v_fmac_f32_e32 v59, -0.5, v107
	v_add_f32_e32 v72, v72, v71
	v_add_f32_e32 v73, v73, v117
	v_fmamk_f32 v71, v108, 0x3f737871, v69
	v_fmac_f32_e32 v74, 0x3e9e377a, v109
	v_fmac_f32_e32 v58, 0x3e9e377a, v109
	v_sub_f32_e32 v107, v116, v117
	v_sub_f32_e32 v109, v119, v118
	v_fmamk_f32 v75, v110, 0xbf737871, v59
	v_sub_f32_e32 v111, v117, v116
	v_sub_f32_e32 v115, v118, v119
	v_fmac_f32_e32 v59, 0x3f737871, v110
	v_fmac_f32_e32 v69, 0xbf737871, v108
	v_add_f32_e32 v73, v73, v118
	v_fmac_f32_e32 v71, 0x3f167918, v110
	v_add_f32_e32 v107, v107, v109
	;; [unrolled: 2-line block ×3, first 2 shown]
	v_fmac_f32_e32 v59, 0xbf167918, v108
	v_fmac_f32_e32 v69, 0xbf167918, v110
	v_add_f32_e32 v73, v73, v119
	v_fmac_f32_e32 v71, 0x3e9e377a, v107
	v_fmac_f32_e32 v75, 0x3e9e377a, v109
	;; [unrolled: 1-line block ×4, first 2 shown]
	s_barrier
	buffer_gl0_inv
	ds_write2_b64 v113, v[62:63], v[64:65] offset1:2
	ds_write2_b64 v113, v[66:67], v[56:57] offset0:4 offset1:6
	ds_write_b64 v113, v[60:61] offset:64
	ds_write2_b64 v112, v[72:73], v[70:71] offset1:2
	ds_write2_b64 v112, v[74:75], v[58:59] offset0:4 offset1:6
	ds_write_b64 v112, v[68:69] offset:64
	s_and_saveexec_b32 s1, s0
	s_cbranch_execz .LBB0_21
; %bb.20:
	v_mul_f32_e32 v56, v5, v54
	v_mul_f32_e32 v57, v3, v101
	;; [unrolled: 1-line block ×5, first 2 shown]
	v_fma_f32 v55, v4, v55, -v56
	v_mul_f32_e32 v56, v7, v29
	v_mul_f32_e32 v61, v1, v31
	v_fma_f32 v29, v6, v29, -v59
	v_fmac_f32_e32 v60, v4, v54
	v_mul_f32_e32 v54, v3, v102
	v_fmac_f32_e32 v56, v6, v28
	v_fma_f32 v6, v2, v102, -v57
	v_fma_f32 v4, v0, v31, -v58
	v_add_f32_e32 v3, v60, v52
	v_fmac_f32_e32 v61, v0, v30
	v_fmac_f32_e32 v54, v2, v101
	v_add_f32_e32 v2, v55, v6
	v_add_f32_e32 v5, v29, v4
	;; [unrolled: 1-line block ×3, first 2 shown]
	v_sub_f32_e32 v28, v56, v61
	v_add_f32_e32 v1, v55, v53
	v_fma_f32 v3, -0.5, v2, v53
	v_sub_f32_e32 v2, v29, v55
	v_sub_f32_e32 v30, v4, v6
	;; [unrolled: 1-line block ×3, first 2 shown]
	v_fmac_f32_e32 v53, -0.5, v5
	v_fmamk_f32 v5, v28, 0x3f737871, v3
	v_fmac_f32_e32 v3, 0xbf737871, v28
	v_sub_f32_e32 v57, v55, v29
	v_sub_f32_e32 v58, v6, v4
	v_fmamk_f32 v7, v31, 0xbf737871, v53
	v_add_f32_e32 v2, v2, v30
	v_fmac_f32_e32 v5, 0xbf167918, v31
	v_fmac_f32_e32 v3, 0x3f167918, v31
	;; [unrolled: 1-line block ×3, first 2 shown]
	v_add_f32_e32 v1, v29, v1
	v_add_f32_e32 v30, v57, v58
	v_fmac_f32_e32 v7, 0xbf167918, v28
	v_fmac_f32_e32 v5, 0x3e9e377a, v2
	;; [unrolled: 1-line block ×3, first 2 shown]
	v_add_f32_e32 v2, v60, v54
	v_fmac_f32_e32 v53, 0x3f167918, v28
	v_add_f32_e32 v57, v56, v61
	v_add_f32_e32 v1, v4, v1
	;; [unrolled: 1-line block ×3, first 2 shown]
	v_fmac_f32_e32 v7, 0x3e9e377a, v30
	v_sub_f32_e32 v28, v56, v60
	v_sub_f32_e32 v31, v61, v54
	v_fma_f32 v2, -0.5, v2, v52
	v_fmac_f32_e32 v53, 0x3e9e377a, v30
	v_sub_f32_e32 v30, v55, v6
	v_fmac_f32_e32 v52, -0.5, v57
	v_sub_f32_e32 v29, v29, v4
	v_add_f32_e32 v1, v6, v1
	v_add_f32_e32 v0, v54, v0
	;; [unrolled: 1-line block ×3, first 2 shown]
	v_sub_f32_e32 v31, v60, v56
	v_sub_f32_e32 v54, v54, v61
	v_fmamk_f32 v6, v30, 0x3f737871, v52
	v_fmac_f32_e32 v52, 0xbf737871, v30
	v_mul_u32_u24_e32 v55, 10, v106
	v_fmamk_f32 v4, v29, 0xbf737871, v2
	v_fmac_f32_e32 v2, 0x3f737871, v29
	v_add_f32_e32 v31, v31, v54
	v_fmac_f32_e32 v52, 0xbf167918, v29
	v_or_b32_e32 v54, v55, v105
	v_fmac_f32_e32 v4, 0x3f167918, v30
	v_fmac_f32_e32 v2, 0xbf167918, v30
	;; [unrolled: 1-line block ×4, first 2 shown]
	v_lshlrev_b32_e32 v29, 3, v54
	v_fmac_f32_e32 v4, 0x3e9e377a, v28
	v_fmac_f32_e32 v2, 0x3e9e377a, v28
	;; [unrolled: 1-line block ×3, first 2 shown]
	ds_write2_b64 v29, v[0:1], v[52:53] offset1:2
	ds_write2_b64 v29, v[2:3], v[4:5] offset0:4 offset1:6
	ds_write_b64 v29, v[6:7] offset:64
.LBB0_21:
	s_or_b32 exec_lo, exec_lo, s1
	s_waitcnt lgkmcnt(0)
	s_barrier
	buffer_gl0_inv
	ds_read2_b64 v[4:7], v103 offset1:110
	v_add_nc_u32_e32 v0, 0x400, v103
	v_add_nc_u32_e32 v2, 0xc00, v103
	ds_read2_b64 v[28:31], v0 offset0:92 offset1:202
	ds_read2_b64 v[52:55], v2 offset0:56 offset1:166
	v_add_nc_u32_e32 v1, 0x1400, v103
	v_add_nc_u32_e32 v3, 0x1800, v103
	s_mov_b32 s2, 0xdfd760e6
	s_mov_b32 s3, 0x3f4b14bb
	s_mul_i32 s1, s9, 0x25d
	ds_read2_b64 v[56:59], v1 offset0:20 offset1:130
	ds_read_b64 v[64:65], v103 offset:8800
	ds_read2_b64 v[60:63], v3 offset0:112 offset1:222
	s_waitcnt lgkmcnt(0)
	s_barrier
	buffer_gl0_inv
	s_mul_hi_u32 s4, s8, 0x25d
	s_add_i32 s1, s4, s1
	v_mul_f32_e32 v66, v25, v7
	v_mul_f32_e32 v25, v25, v6
	v_fmac_f32_e32 v66, v24, v6
	v_fma_f32 v6, v24, v7, -v25
	v_mul_f32_e32 v24, v27, v29
	v_mul_f32_e32 v7, v27, v28
	;; [unrolled: 1-line block ×8, first 2 shown]
	v_fmac_f32_e32 v24, v26, v28
	v_fma_f32 v26, v26, v29, -v7
	v_fmac_f32_e32 v25, v20, v30
	v_fma_f32 v20, v20, v31, -v21
	v_fma_f32 v21, v22, v53, -v23
	v_add_f32_e32 v7, v4, v66
	v_add_f32_e32 v23, v5, v6
	v_fmac_f32_e32 v27, v22, v52
	v_mul_f32_e32 v22, v15, v57
	v_fmac_f32_e32 v67, v12, v54
	v_fma_f32 v12, v12, v55, -v13
	v_mul_f32_e32 v13, v15, v56
	v_add_f32_e32 v7, v7, v24
	v_add_f32_e32 v15, v23, v26
	v_fmac_f32_e32 v22, v14, v56
	v_mul_f32_e32 v23, v9, v59
	v_fma_f32 v13, v14, v57, -v13
	v_add_f32_e32 v7, v7, v25
	v_add_f32_e32 v14, v15, v20
	v_mul_f32_e32 v9, v9, v58
	v_fmac_f32_e32 v23, v8, v58
	v_mul_f32_e32 v15, v17, v63
	v_add_f32_e32 v7, v7, v27
	v_add_f32_e32 v14, v14, v21
	v_fma_f32 v8, v8, v59, -v9
	v_mul_f32_e32 v9, v11, v61
	v_mul_f32_e32 v11, v11, v60
	v_add_f32_e32 v7, v7, v67
	v_add_f32_e32 v14, v14, v12
	v_mul_f32_e32 v17, v17, v62
	v_fmac_f32_e32 v9, v10, v60
	v_fma_f32 v10, v10, v61, -v11
	v_add_f32_e32 v7, v7, v22
	v_add_f32_e32 v14, v14, v13
	v_mul_f32_e32 v11, v19, v64
	v_fmac_f32_e32 v15, v16, v62
	v_mul_f32_e32 v19, v19, v65
	v_add_f32_e32 v7, v7, v23
	v_add_f32_e32 v14, v14, v8
	v_fma_f32 v11, v18, v65, -v11
	v_fma_f32 v16, v16, v63, -v17
	v_fmac_f32_e32 v19, v18, v64
	v_add_f32_e32 v7, v7, v9
	v_add_f32_e32 v14, v14, v10
	v_sub_f32_e32 v17, v6, v11
	v_add_f32_e32 v28, v6, v11
	v_add_f32_e32 v18, v66, v19
	;; [unrolled: 1-line block ×4, first 2 shown]
	v_mul_f32_e32 v29, 0xbf0a6770, v17
	v_sub_f32_e32 v14, v66, v19
	v_mul_f32_e32 v30, 0x3f575c64, v28
	v_mul_f32_e32 v53, 0x3ed4b147, v28
	v_add_f32_e32 v7, v7, v11
	v_mul_f32_e32 v11, 0xbf68dda4, v17
	v_mul_f32_e32 v54, 0xbf7d64f0, v17
	;; [unrolled: 1-line block ×7, first 2 shown]
	v_sub_f32_e32 v64, v26, v16
	v_fmamk_f32 v31, v18, 0x3f575c64, v29
	v_fma_f32 v29, 0x3f575c64, v18, -v29
	v_fmamk_f32 v52, v18, 0x3ed4b147, v11
	v_fma_f32 v11, 0x3ed4b147, v18, -v11
	;; [unrolled: 2-line block ×4, first 2 shown]
	v_fmamk_f32 v63, v18, 0xbf75a155, v17
	v_fmamk_f32 v65, v14, 0x3e903f40, v28
	v_fma_f32 v17, 0xbf75a155, v18, -v17
	v_add_f32_e32 v16, v26, v16
	v_add_f32_e32 v18, v24, v15
	v_mul_f32_e32 v26, 0xbf68dda4, v64
	v_add_f32_e32 v6, v6, v19
	v_fmamk_f32 v19, v14, 0x3f0a6770, v30
	v_add_f32_e32 v31, v4, v31
	v_fmac_f32_e32 v30, 0xbf0a6770, v14
	v_fmamk_f32 v55, v14, 0x3f68dda4, v53
	v_fmac_f32_e32 v53, 0xbf68dda4, v14
	v_fmamk_f32 v58, v14, 0x3f7d64f0, v56
	;; [unrolled: 2-line block ×3, first 2 shown]
	v_fmac_f32_e32 v60, 0xbf4178ce, v14
	v_fmac_f32_e32 v28, 0xbe903f40, v14
	v_sub_f32_e32 v14, v24, v15
	v_mul_f32_e32 v15, 0x3ed4b147, v16
	v_add_f32_e32 v24, v5, v65
	v_fmamk_f32 v65, v18, 0x3ed4b147, v26
	v_add_f32_e32 v19, v5, v19
	v_add_f32_e32 v29, v4, v29
	;; [unrolled: 1-line block ×18, first 2 shown]
	v_fmamk_f32 v17, v14, 0x3f68dda4, v15
	v_mul_f32_e32 v28, 0xbf4178ce, v64
	v_add_f32_e32 v31, v65, v31
	v_fma_f32 v26, 0x3ed4b147, v18, -v26
	v_fmac_f32_e32 v15, 0xbf68dda4, v14
	v_mul_f32_e32 v65, 0xbf27a4f4, v16
	v_add_f32_e32 v17, v17, v19
	v_fmamk_f32 v19, v18, 0xbf27a4f4, v28
	v_add_f32_e32 v26, v26, v29
	v_add_f32_e32 v15, v15, v30
	v_mul_f32_e32 v29, 0x3e903f40, v64
	v_fmamk_f32 v30, v14, 0x3f4178ce, v65
	v_fma_f32 v28, 0xbf27a4f4, v18, -v28
	v_fmac_f32_e32 v65, 0xbf4178ce, v14
	v_mul_f32_e32 v66, 0xbf75a155, v16
	v_add_f32_e32 v19, v19, v52
	v_fmamk_f32 v52, v18, 0xbf75a155, v29
	v_add_f32_e32 v30, v30, v55
	v_add_f32_e32 v11, v28, v11
	v_add_f32_e32 v28, v65, v53
	v_fmamk_f32 v53, v14, 0xbe903f40, v66
	v_mul_f32_e32 v55, 0x3f7d64f0, v64
	v_add_f32_e32 v52, v52, v57
	v_fma_f32 v29, 0xbf75a155, v18, -v29
	v_mul_f32_e32 v57, 0xbe11bafb, v16
	v_add_f32_e32 v53, v53, v58
	v_fmamk_f32 v58, v18, 0xbe11bafb, v55
	v_mul_f32_e32 v64, 0x3f0a6770, v64
	v_fma_f32 v55, 0xbe11bafb, v18, -v55
	v_add_f32_e32 v29, v29, v54
	v_fmamk_f32 v54, v14, 0xbf7d64f0, v57
	v_add_f32_e32 v58, v58, v61
	v_fmac_f32_e32 v57, 0x3f7d64f0, v14
	v_fmamk_f32 v61, v18, 0x3f575c64, v64
	v_add_f32_e32 v55, v55, v59
	v_sub_f32_e32 v59, v20, v10
	v_add_f32_e32 v54, v54, v62
	v_mul_f32_e32 v16, 0x3f575c64, v16
	v_add_f32_e32 v57, v57, v60
	v_add_f32_e32 v60, v61, v63
	;; [unrolled: 1-line block ×3, first 2 shown]
	v_mul_f32_e32 v63, 0xbf7d64f0, v59
	v_add_f32_e32 v10, v20, v10
	v_fmac_f32_e32 v66, 0x3e903f40, v14
	v_fmamk_f32 v61, v14, 0xbf0a6770, v16
	v_fma_f32 v18, 0x3f575c64, v18, -v64
	v_fmac_f32_e32 v16, 0x3f0a6770, v14
	v_sub_f32_e32 v9, v25, v9
	v_fmamk_f32 v14, v62, 0xbe11bafb, v63
	v_mul_f32_e32 v20, 0xbe11bafb, v10
	v_add_f32_e32 v4, v18, v4
	v_add_f32_e32 v5, v16, v5
	v_mul_f32_e32 v18, 0x3e903f40, v59
	v_add_f32_e32 v14, v14, v31
	v_fmamk_f32 v16, v9, 0x3f7d64f0, v20
	v_fma_f32 v25, 0xbe11bafb, v62, -v63
	v_fmac_f32_e32 v20, 0xbf7d64f0, v9
	v_mul_f32_e32 v31, 0xbf75a155, v10
	v_add_f32_e32 v56, v66, v56
	v_add_f32_e32 v16, v16, v17
	v_fmamk_f32 v17, v62, 0xbf75a155, v18
	v_add_f32_e32 v25, v25, v26
	v_add_f32_e32 v15, v20, v15
	v_fmamk_f32 v20, v9, 0xbe903f40, v31
	v_mul_f32_e32 v26, 0x3f68dda4, v59
	v_fma_f32 v18, 0xbf75a155, v62, -v18
	v_fmac_f32_e32 v31, 0x3e903f40, v9
	v_add_f32_e32 v17, v17, v19
	v_add_f32_e32 v19, v20, v30
	v_fmamk_f32 v20, v62, 0x3ed4b147, v26
	v_mul_f32_e32 v30, 0x3ed4b147, v10
	v_add_f32_e32 v11, v18, v11
	v_add_f32_e32 v18, v31, v28
	v_mul_f32_e32 v28, 0xbf0a6770, v59
	v_add_f32_e32 v24, v61, v24
	v_add_f32_e32 v20, v20, v52
	v_fmamk_f32 v31, v9, 0xbf68dda4, v30
	v_fma_f32 v26, 0x3ed4b147, v62, -v26
	v_fmac_f32_e32 v30, 0x3f68dda4, v9
	v_fmamk_f32 v52, v62, 0x3f575c64, v28
	v_mul_f32_e32 v61, 0x3f575c64, v10
	v_mul_f32_e32 v10, 0xbf27a4f4, v10
	v_add_f32_e32 v26, v26, v29
	v_add_f32_e32 v29, v30, v56
	v_add_f32_e32 v30, v52, v58
	v_fmamk_f32 v52, v9, 0x3f0a6770, v61
	v_fma_f32 v28, 0x3f575c64, v62, -v28
	v_fmac_f32_e32 v61, 0xbf0a6770, v9
	v_add_f32_e32 v31, v31, v53
	v_mul_f32_e32 v53, 0xbf4178ce, v59
	v_fmamk_f32 v56, v9, 0x3f4178ce, v10
	v_add_f32_e32 v28, v28, v55
	v_add_f32_e32 v55, v61, v57
	v_sub_f32_e32 v57, v21, v8
	v_add_f32_e32 v8, v21, v8
	v_add_f32_e32 v52, v52, v54
	v_fmamk_f32 v54, v62, 0xbf27a4f4, v53
	v_add_f32_e32 v24, v56, v24
	v_add_f32_e32 v56, v27, v23
	v_mul_f32_e32 v21, 0xbf4178ce, v57
	v_fma_f32 v53, 0xbf27a4f4, v62, -v53
	v_fmac_f32_e32 v10, 0xbf4178ce, v9
	v_sub_f32_e32 v9, v27, v23
	v_mul_f32_e32 v23, 0xbf27a4f4, v8
	v_fmamk_f32 v27, v56, 0xbf27a4f4, v21
	v_add_f32_e32 v4, v53, v4
	v_add_f32_e32 v5, v10, v5
	v_mul_f32_e32 v10, 0x3f7d64f0, v57
	v_fmamk_f32 v53, v9, 0x3f4178ce, v23
	v_add_f32_e32 v14, v27, v14
	v_fma_f32 v21, 0xbf27a4f4, v56, -v21
	v_fmac_f32_e32 v23, 0xbf4178ce, v9
	v_fmamk_f32 v27, v56, 0xbe11bafb, v10
	v_add_f32_e32 v16, v53, v16
	v_mul_f32_e32 v53, 0xbe11bafb, v8
	v_add_f32_e32 v21, v21, v25
	v_add_f32_e32 v15, v23, v15
	;; [unrolled: 1-line block ×3, first 2 shown]
	v_mul_f32_e32 v23, 0xbf0a6770, v57
	v_fmamk_f32 v25, v9, 0xbf7d64f0, v53
	v_fma_f32 v10, 0xbe11bafb, v56, -v10
	v_mul_f32_e32 v27, 0x3f575c64, v8
	v_fmac_f32_e32 v53, 0x3f7d64f0, v9
	v_fmamk_f32 v58, v56, 0x3f575c64, v23
	v_add_f32_e32 v19, v25, v19
	v_add_f32_e32 v25, v10, v11
	v_fmamk_f32 v10, v9, 0x3f0a6770, v27
	v_mul_f32_e32 v11, 0xbe903f40, v57
	v_fma_f32 v23, 0x3f575c64, v56, -v23
	v_fmac_f32_e32 v27, 0xbf0a6770, v9
	v_add_f32_e32 v18, v53, v18
	v_add_f32_e32 v54, v54, v60
	v_fmamk_f32 v53, v56, 0xbf75a155, v11
	v_add_f32_e32 v23, v23, v26
	v_add_f32_e32 v26, v27, v29
	v_mul_f32_e32 v27, 0x3f68dda4, v57
	v_add_f32_e32 v31, v10, v31
	v_mul_f32_e32 v10, 0xbf75a155, v8
	v_add_f32_e32 v30, v53, v30
	v_fma_f32 v11, 0xbf75a155, v56, -v11
	v_fmamk_f32 v53, v56, 0x3ed4b147, v27
	v_mul_f32_e32 v8, 0x3ed4b147, v8
	v_fmamk_f32 v29, v9, 0x3e903f40, v10
	v_fmac_f32_e32 v10, 0xbe903f40, v9
	v_add_f32_e32 v28, v11, v28
	v_add_f32_e32 v53, v53, v54
	v_sub_f32_e32 v54, v12, v13
	v_fma_f32 v11, 0x3ed4b147, v56, -v27
	v_add_f32_e32 v27, v12, v13
	v_add_f32_e32 v29, v29, v52
	;; [unrolled: 1-line block ×3, first 2 shown]
	v_fmamk_f32 v10, v9, 0xbf68dda4, v8
	v_add_f32_e32 v55, v67, v22
	v_mul_f32_e32 v12, 0xbe903f40, v54
	v_fmac_f32_e32 v8, 0x3f68dda4, v9
	v_sub_f32_e32 v22, v67, v22
	v_mul_f32_e32 v9, 0xbf75a155, v27
	v_add_f32_e32 v24, v10, v24
	v_fmamk_f32 v10, v55, 0xbf75a155, v12
	v_add_f32_e32 v56, v11, v4
	v_add_f32_e32 v57, v8, v5
	v_fmamk_f32 v5, v22, 0x3e903f40, v9
	v_mul_f32_e32 v11, 0x3f0a6770, v54
	v_fmac_f32_e32 v9, 0xbe903f40, v22
	v_add_f32_e32 v4, v10, v14
	v_mul_f32_e32 v13, 0x3f575c64, v27
	v_add_f32_e32 v20, v58, v20
	v_fmamk_f32 v10, v55, 0x3f575c64, v11
	v_add_f32_e32 v9, v9, v15
	v_mul_f32_e32 v15, 0xbf4178ce, v54
	v_fma_f32 v8, 0xbf75a155, v55, -v12
	v_add_f32_e32 v5, v5, v16
	v_add_f32_e32 v10, v10, v17
	v_fmamk_f32 v12, v22, 0xbf0a6770, v13
	v_fma_f32 v14, 0x3f575c64, v55, -v11
	v_fmac_f32_e32 v13, 0x3f0a6770, v22
	v_fmamk_f32 v16, v55, 0xbf27a4f4, v15
	v_mul_f32_e32 v17, 0xbf27a4f4, v27
	v_add_f32_e32 v11, v12, v19
	v_add_f32_e32 v12, v14, v25
	;; [unrolled: 1-line block ×4, first 2 shown]
	v_fmamk_f32 v16, v22, 0x3f4178ce, v17
	v_mul_f32_e32 v18, 0x3f68dda4, v54
	v_fma_f32 v19, 0xbf27a4f4, v55, -v15
	v_fmac_f32_e32 v17, 0xbf4178ce, v22
	v_add_f32_e32 v8, v8, v21
	v_mul_f32_e32 v21, 0x3ed4b147, v27
	v_add_f32_e32 v15, v16, v31
	v_fmamk_f32 v20, v55, 0x3ed4b147, v18
	v_add_f32_e32 v16, v19, v23
	v_add_f32_e32 v17, v17, v26
	v_fma_f32 v23, 0x3ed4b147, v55, -v18
	v_mul_f32_e32 v25, 0xbf7d64f0, v54
	v_mul_f32_e32 v26, 0xbe11bafb, v27
	v_fmamk_f32 v19, v22, 0xbf68dda4, v21
	v_add_f32_e32 v18, v20, v30
	v_add_f32_e32 v20, v23, v28
	v_fmamk_f32 v23, v55, 0xbe11bafb, v25
	v_fmamk_f32 v27, v22, 0x3f7d64f0, v26
	v_fmac_f32_e32 v21, 0x3f68dda4, v22
	v_fma_f32 v25, 0xbe11bafb, v55, -v25
	v_fmac_f32_e32 v26, 0xbf7d64f0, v22
	v_add_f32_e32 v19, v19, v29
	v_add_f32_e32 v22, v23, v53
	;; [unrolled: 1-line block ×6, first 2 shown]
	ds_write2_b64 v114, v[6:7], v[4:5] offset1:10
	ds_write2_b64 v114, v[10:11], v[14:15] offset0:20 offset1:30
	ds_write2_b64 v114, v[18:19], v[22:23] offset0:40 offset1:50
	ds_write2_b64 v114, v[24:25], v[20:21] offset0:60 offset1:70
	ds_write2_b64 v114, v[16:17], v[12:13] offset0:80 offset1:90
	ds_write_b64 v114, v[8:9] offset:800
	s_waitcnt lgkmcnt(0)
	s_barrier
	buffer_gl0_inv
	ds_read2_b64 v[4:7], v103 offset1:110
	ds_read2_b64 v[8:11], v0 offset0:92 offset1:202
	ds_read2_b64 v[12:15], v2 offset0:56 offset1:166
	;; [unrolled: 1-line block ×4, first 2 shown]
	ds_read_b64 v[24:25], v103 offset:8800
	s_waitcnt lgkmcnt(5)
	v_mul_f32_e32 v26, v49, v7
	s_waitcnt lgkmcnt(4)
	v_mul_f32_e32 v28, v51, v9
	v_mul_f32_e32 v27, v49, v6
	;; [unrolled: 1-line block ×3, first 2 shown]
	v_fmac_f32_e32 v26, v48, v6
	v_fmac_f32_e32 v28, v50, v8
	v_mul_f32_e32 v8, v45, v11
	v_fma_f32 v6, v48, v7, -v27
	v_mul_f32_e32 v7, v45, v10
	v_fma_f32 v9, v50, v9, -v29
	s_waitcnt lgkmcnt(3)
	v_mul_f32_e32 v27, v47, v13
	v_fmac_f32_e32 v8, v44, v10
	v_mul_f32_e32 v10, v37, v15
	v_mul_f32_e32 v29, v47, v12
	v_fma_f32 v11, v44, v11, -v7
	v_mul_f32_e32 v7, v37, v14
	v_fmac_f32_e32 v27, v46, v12
	v_fmac_f32_e32 v10, v36, v14
	v_add_f32_e32 v14, v4, v26
	v_fma_f32 v12, v46, v13, -v29
	s_waitcnt lgkmcnt(2)
	v_mul_f32_e32 v13, v39, v17
	v_add_f32_e32 v29, v5, v6
	v_fma_f32 v15, v36, v15, -v7
	v_mul_f32_e32 v7, v39, v16
	v_add_f32_e32 v14, v14, v28
	v_fmac_f32_e32 v13, v38, v16
	v_add_f32_e32 v16, v29, v9
	v_mul_f32_e32 v29, v33, v19
	v_fma_f32 v17, v38, v17, -v7
	v_mul_f32_e32 v7, v33, v18
	v_add_f32_e32 v14, v14, v8
	v_add_f32_e32 v16, v16, v11
	v_fmac_f32_e32 v29, v32, v18
	s_waitcnt lgkmcnt(1)
	v_mul_f32_e32 v18, v35, v21
	v_fma_f32 v19, v32, v19, -v7
	v_add_f32_e32 v7, v14, v27
	v_add_f32_e32 v14, v16, v12
	v_mul_f32_e32 v16, v35, v20
	v_fmac_f32_e32 v18, v34, v20
	v_mul_f32_e32 v20, v41, v23
	v_add_f32_e32 v7, v7, v10
	v_add_f32_e32 v14, v14, v15
	v_fma_f32 v16, v34, v21, -v16
	s_waitcnt lgkmcnt(0)
	v_mul_f32_e32 v21, v43, v24
	v_mul_f32_e32 v30, v43, v25
	v_add_f32_e32 v7, v7, v13
	v_add_f32_e32 v14, v14, v17
	v_fmac_f32_e32 v20, v40, v22
	v_fma_f32 v21, v42, v25, -v21
	v_mul_f32_e32 v22, v41, v22
	v_add_f32_e32 v7, v7, v29
	v_add_f32_e32 v14, v14, v19
	v_fmac_f32_e32 v30, v42, v24
	v_sub_f32_e32 v24, v6, v21
	v_fma_f32 v22, v40, v23, -v22
	v_add_f32_e32 v7, v7, v18
	v_add_f32_e32 v14, v14, v16
	;; [unrolled: 1-line block ×3, first 2 shown]
	v_mul_f32_e32 v25, 0xbf0a6770, v24
	v_add_f32_e32 v31, v6, v21
	v_add_f32_e32 v6, v7, v20
	;; [unrolled: 1-line block ×3, first 2 shown]
	v_sub_f32_e32 v14, v26, v30
	v_fmamk_f32 v26, v23, 0x3f575c64, v25
	v_mul_f32_e32 v32, 0x3f575c64, v31
	v_add_f32_e32 v6, v6, v30
	v_mul_f32_e32 v30, 0xbf68dda4, v24
	v_mul_f32_e32 v33, 0x3ed4b147, v31
	v_mul_f32_e32 v36, 0xbf7d64f0, v24
	v_mul_f32_e32 v38, 0xbe11bafb, v31
	v_mul_f32_e32 v39, 0xbf4178ce, v24
	v_mul_f32_e32 v42, 0xbf27a4f4, v31
	v_mul_f32_e32 v24, 0xbe903f40, v24
	v_mul_f32_e32 v31, 0xbf75a155, v31
	v_sub_f32_e32 v46, v9, v22
	v_add_f32_e32 v9, v9, v22
	v_add_f32_e32 v7, v7, v21
	;; [unrolled: 1-line block ×3, first 2 shown]
	v_fmamk_f32 v26, v14, 0x3f0a6770, v32
	v_fma_f32 v25, 0x3f575c64, v23, -v25
	v_fmac_f32_e32 v32, 0xbf0a6770, v14
	v_fmamk_f32 v34, v23, 0x3ed4b147, v30
	v_fmamk_f32 v35, v14, 0x3f68dda4, v33
	v_fma_f32 v30, 0x3ed4b147, v23, -v30
	v_fmac_f32_e32 v33, 0xbf68dda4, v14
	v_fmamk_f32 v37, v23, 0xbe11bafb, v36
	;; [unrolled: 4-line block ×4, first 2 shown]
	v_fmamk_f32 v45, v14, 0x3e903f40, v31
	v_add_f32_e32 v47, v28, v20
	v_mul_f32_e32 v22, 0xbf68dda4, v46
	v_fma_f32 v23, 0xbf75a155, v23, -v24
	v_fmac_f32_e32 v31, 0xbe903f40, v14
	v_sub_f32_e32 v14, v28, v20
	v_mul_f32_e32 v20, 0x3ed4b147, v9
	v_add_f32_e32 v26, v5, v26
	v_add_f32_e32 v25, v4, v25
	v_add_f32_e32 v34, v4, v34
	v_add_f32_e32 v30, v4, v30
	v_add_f32_e32 v37, v4, v37
	v_add_f32_e32 v36, v4, v36
	v_add_f32_e32 v41, v4, v41
	v_add_f32_e32 v39, v4, v39
	v_add_f32_e32 v44, v4, v44
	v_fmamk_f32 v24, v47, 0x3ed4b147, v22
	v_add_f32_e32 v4, v4, v23
	v_mul_f32_e32 v23, 0xbf4178ce, v46
	v_fmamk_f32 v28, v14, 0x3f68dda4, v20
	v_fma_f32 v22, 0x3ed4b147, v47, -v22
	v_add_f32_e32 v32, v5, v32
	v_add_f32_e32 v21, v24, v21
	v_fmac_f32_e32 v20, 0xbf68dda4, v14
	v_fmamk_f32 v24, v47, 0xbf27a4f4, v23
	v_add_f32_e32 v26, v28, v26
	v_mul_f32_e32 v28, 0xbf27a4f4, v9
	v_add_f32_e32 v22, v22, v25
	v_mul_f32_e32 v25, 0x3e903f40, v46
	v_add_f32_e32 v35, v5, v35
	v_add_f32_e32 v33, v5, v33
	;; [unrolled: 1-line block ×10, first 2 shown]
	v_fmamk_f32 v31, v14, 0x3f4178ce, v28
	v_fma_f32 v23, 0xbf27a4f4, v47, -v23
	v_fmac_f32_e32 v28, 0xbf4178ce, v14
	v_mul_f32_e32 v32, 0xbf75a155, v9
	v_fmamk_f32 v34, v47, 0xbf75a155, v25
	v_fma_f32 v25, 0xbf75a155, v47, -v25
	v_add_f32_e32 v23, v23, v30
	v_add_f32_e32 v28, v28, v33
	v_fmamk_f32 v30, v14, 0xbe903f40, v32
	v_add_f32_e32 v33, v34, v37
	v_mul_f32_e32 v34, 0x3f7d64f0, v46
	v_add_f32_e32 v25, v25, v36
	v_mul_f32_e32 v36, 0x3f0a6770, v46
	v_add_f32_e32 v31, v31, v35
	v_fmac_f32_e32 v32, 0x3e903f40, v14
	v_add_f32_e32 v30, v30, v40
	v_mul_f32_e32 v35, 0xbe11bafb, v9
	v_fmamk_f32 v37, v47, 0xbe11bafb, v34
	v_fma_f32 v34, 0xbe11bafb, v47, -v34
	v_fmamk_f32 v40, v47, 0x3f575c64, v36
	v_add_f32_e32 v32, v32, v38
	v_fmamk_f32 v38, v14, 0xbf7d64f0, v35
	v_fmac_f32_e32 v35, 0x3f7d64f0, v14
	v_mul_f32_e32 v9, 0x3f575c64, v9
	v_add_f32_e32 v34, v34, v39
	v_add_f32_e32 v39, v40, v44
	v_sub_f32_e32 v40, v11, v16
	v_add_f32_e32 v11, v11, v16
	v_add_f32_e32 v37, v37, v41
	v_add_f32_e32 v35, v35, v42
	v_fmamk_f32 v41, v14, 0xbf0a6770, v9
	v_fma_f32 v36, 0x3f575c64, v47, -v36
	v_add_f32_e32 v16, v8, v18
	v_mul_f32_e32 v42, 0xbf7d64f0, v40
	v_fmac_f32_e32 v9, 0x3f0a6770, v14
	v_sub_f32_e32 v8, v8, v18
	v_mul_f32_e32 v14, 0xbe11bafb, v11
	v_add_f32_e32 v18, v41, v45
	v_fmamk_f32 v41, v16, 0xbe11bafb, v42
	v_add_f32_e32 v4, v36, v4
	v_add_f32_e32 v5, v9, v5
	v_fmamk_f32 v9, v8, 0x3f7d64f0, v14
	v_mul_f32_e32 v36, 0x3e903f40, v40
	v_fmac_f32_e32 v14, 0xbf7d64f0, v8
	v_add_f32_e32 v21, v41, v21
	v_fma_f32 v41, 0xbe11bafb, v16, -v42
	v_add_f32_e32 v9, v9, v26
	v_fmamk_f32 v26, v16, 0xbf75a155, v36
	v_mul_f32_e32 v42, 0xbf75a155, v11
	v_add_f32_e32 v14, v14, v20
	v_mul_f32_e32 v20, 0x3f68dda4, v40
	v_add_f32_e32 v38, v38, v43
	v_add_f32_e32 v22, v41, v22
	;; [unrolled: 1-line block ×3, first 2 shown]
	v_fmamk_f32 v26, v8, 0xbe903f40, v42
	v_fma_f32 v36, 0xbf75a155, v16, -v36
	v_fmamk_f32 v41, v16, 0x3ed4b147, v20
	v_mul_f32_e32 v43, 0x3ed4b147, v11
	v_fma_f32 v20, 0x3ed4b147, v16, -v20
	v_add_f32_e32 v26, v26, v31
	v_add_f32_e32 v23, v36, v23
	v_add_f32_e32 v31, v41, v33
	v_fmamk_f32 v33, v8, 0xbf68dda4, v43
	v_mul_f32_e32 v36, 0xbf0a6770, v40
	v_fmac_f32_e32 v43, 0x3f68dda4, v8
	v_mul_f32_e32 v41, 0x3f575c64, v11
	v_mul_f32_e32 v40, 0xbf4178ce, v40
	v_add_f32_e32 v30, v33, v30
	v_fmamk_f32 v33, v16, 0x3f575c64, v36
	v_fma_f32 v36, 0x3f575c64, v16, -v36
	v_add_f32_e32 v20, v20, v25
	v_add_f32_e32 v25, v43, v32
	v_fmamk_f32 v32, v8, 0x3f0a6770, v41
	v_add_f32_e32 v33, v33, v37
	v_fmamk_f32 v37, v16, 0xbf27a4f4, v40
	v_mul_f32_e32 v11, 0xbf27a4f4, v11
	v_add_f32_e32 v34, v36, v34
	v_sub_f32_e32 v36, v12, v19
	v_add_f32_e32 v12, v12, v19
	v_fmac_f32_e32 v42, 0x3e903f40, v8
	v_fmac_f32_e32 v41, 0xbf0a6770, v8
	v_add_f32_e32 v32, v32, v38
	v_add_f32_e32 v37, v37, v39
	v_fmamk_f32 v38, v8, 0x3f4178ce, v11
	v_add_f32_e32 v39, v27, v29
	v_mul_f32_e32 v19, 0xbf4178ce, v36
	v_fmac_f32_e32 v11, 0xbf4178ce, v8
	v_sub_f32_e32 v8, v27, v29
	v_mul_f32_e32 v27, 0xbf27a4f4, v12
	v_fma_f32 v16, 0xbf27a4f4, v16, -v40
	v_fmamk_f32 v29, v39, 0xbf27a4f4, v19
	v_add_f32_e32 v5, v11, v5
	v_fma_f32 v19, 0xbf27a4f4, v39, -v19
	v_fmamk_f32 v11, v8, 0x3f4178ce, v27
	v_add_f32_e32 v4, v16, v4
	v_add_f32_e32 v16, v29, v21
	v_mul_f32_e32 v21, 0x3f7d64f0, v36
	v_fmac_f32_e32 v27, 0xbf4178ce, v8
	v_add_f32_e32 v9, v11, v9
	v_mul_f32_e32 v11, 0xbe11bafb, v12
	v_add_f32_e32 v19, v19, v22
	v_fmamk_f32 v29, v39, 0xbe11bafb, v21
	v_add_f32_e32 v14, v27, v14
	v_mul_f32_e32 v22, 0xbf0a6770, v36
	v_fmamk_f32 v27, v8, 0xbf7d64f0, v11
	v_add_f32_e32 v28, v42, v28
	v_add_f32_e32 v24, v29, v24
	v_fma_f32 v21, 0xbe11bafb, v39, -v21
	v_fmac_f32_e32 v11, 0x3f7d64f0, v8
	v_fmamk_f32 v29, v39, 0x3f575c64, v22
	v_add_f32_e32 v26, v27, v26
	v_mul_f32_e32 v27, 0x3f575c64, v12
	v_add_f32_e32 v21, v21, v23
	v_add_f32_e32 v23, v11, v28
	;; [unrolled: 1-line block ×3, first 2 shown]
	v_mul_f32_e32 v11, 0xbe903f40, v36
	v_fmamk_f32 v29, v8, 0x3f0a6770, v27
	v_fma_f32 v22, 0x3f575c64, v39, -v22
	v_mul_f32_e32 v31, 0xbf75a155, v12
	v_add_f32_e32 v35, v41, v35
	v_add_f32_e32 v18, v38, v18
	v_fmac_f32_e32 v27, 0xbf0a6770, v8
	v_fmamk_f32 v38, v39, 0xbf75a155, v11
	v_add_f32_e32 v29, v29, v30
	v_add_f32_e32 v20, v22, v20
	v_fmamk_f32 v22, v8, 0x3e903f40, v31
	v_mul_f32_e32 v30, 0x3f68dda4, v36
	v_mul_f32_e32 v12, 0x3ed4b147, v12
	v_fma_f32 v11, 0xbf75a155, v39, -v11
	v_fmac_f32_e32 v31, 0xbe903f40, v8
	v_sub_f32_e32 v36, v15, v17
	v_add_f32_e32 v27, v27, v25
	v_add_f32_e32 v25, v38, v33
	v_fmamk_f32 v33, v8, 0xbf68dda4, v12
	v_add_f32_e32 v34, v11, v34
	v_add_f32_e32 v31, v31, v35
	;; [unrolled: 1-line block ×3, first 2 shown]
	v_mul_f32_e32 v11, 0xbe903f40, v36
	v_add_f32_e32 v17, v15, v17
	v_fmac_f32_e32 v12, 0x3f68dda4, v8
	v_add_f32_e32 v22, v22, v32
	v_fmamk_f32 v32, v39, 0x3ed4b147, v30
	v_fma_f32 v15, 0x3ed4b147, v39, -v30
	v_sub_f32_e32 v30, v10, v13
	v_fmamk_f32 v8, v35, 0xbf75a155, v11
	v_mul_f32_e32 v10, 0xbf75a155, v17
	v_add_f32_e32 v38, v12, v5
	v_mul_f32_e32 v12, 0x3f0a6770, v36
	v_add_f32_e32 v32, v32, v37
	v_add_f32_e32 v37, v15, v4
	v_add_f32_e32 v4, v8, v16
	v_fmamk_f32 v5, v30, 0x3e903f40, v10
	v_fma_f32 v8, 0xbf75a155, v35, -v11
	v_fmac_f32_e32 v10, 0xbe903f40, v30
	v_fmamk_f32 v11, v35, 0x3f575c64, v12
	v_mul_f32_e32 v13, 0x3f575c64, v17
	v_add_f32_e32 v33, v33, v18
	v_add_f32_e32 v5, v5, v9
	v_add_f32_e32 v9, v10, v14
	v_add_f32_e32 v10, v11, v24
	v_fmamk_f32 v11, v30, 0xbf0a6770, v13
	v_fma_f32 v12, 0x3f575c64, v35, -v12
	v_mul_f32_e32 v14, 0xbf4178ce, v36
	v_fmac_f32_e32 v13, 0x3f0a6770, v30
	v_mul_f32_e32 v39, 0xbf27a4f4, v17
	v_mul_f32_e32 v18, 0x3f68dda4, v36
	v_add_f32_e32 v8, v8, v19
	v_add_f32_e32 v12, v12, v21
	v_fmamk_f32 v15, v35, 0xbf27a4f4, v14
	v_add_f32_e32 v13, v13, v23
	v_fmamk_f32 v16, v30, 0x3f4178ce, v39
	v_fma_f32 v19, 0xbf27a4f4, v35, -v14
	v_mul_f32_e32 v21, 0x3ed4b147, v17
	v_fmamk_f32 v23, v35, 0x3ed4b147, v18
	v_add_f32_e32 v14, v15, v28
	v_add_f32_e32 v15, v16, v29
	;; [unrolled: 1-line block ×3, first 2 shown]
	v_fmamk_f32 v19, v30, 0xbf68dda4, v21
	v_fma_f32 v20, 0x3ed4b147, v35, -v18
	v_add_f32_e32 v18, v23, v25
	v_mul_f32_e32 v23, 0xbf7d64f0, v36
	v_mul_f32_e32 v17, 0xbe11bafb, v17
	v_add_f32_e32 v19, v19, v22
	v_fmac_f32_e32 v21, 0x3f68dda4, v30
	v_fmac_f32_e32 v39, 0xbf4178ce, v30
	v_fmamk_f32 v22, v35, 0xbe11bafb, v23
	v_fmamk_f32 v24, v30, 0x3f7d64f0, v17
	v_fma_f32 v25, 0xbe11bafb, v35, -v23
	v_fmac_f32_e32 v17, 0xbf7d64f0, v30
	v_add_f32_e32 v11, v11, v26
	v_add_f32_e32 v22, v22, v32
	;; [unrolled: 1-line block ×8, first 2 shown]
	ds_write2_b64 v103, v[6:7], v[4:5] offset1:110
	ds_write2_b64 v0, v[10:11], v[14:15] offset0:92 offset1:202
	ds_write2_b64 v2, v[18:19], v[22:23] offset0:56 offset1:166
	;; [unrolled: 1-line block ×4, first 2 shown]
	ds_write_b64 v103, v[8:9] offset:8800
	s_waitcnt lgkmcnt(0)
	s_barrier
	buffer_gl0_inv
	ds_read2_b64 v[3:6], v103 offset1:110
	ds_read2_b64 v[7:10], v2 offset0:56 offset1:221
	v_mad_u64_u32 v[15:16], null, s10, v82, 0
	v_mad_u64_u32 v[19:20], null, s8, v104, 0
	s_waitcnt lgkmcnt(1)
	v_mul_f32_e32 v2, v96, v4
	v_mul_f32_e32 v11, v96, v3
	s_waitcnt lgkmcnt(0)
	v_mul_f32_e32 v13, v100, v10
	v_mul_f32_e32 v14, v100, v9
	;; [unrolled: 1-line block ×3, first 2 shown]
	v_fmac_f32_e32 v2, v95, v3
	v_fma_f32 v4, v95, v4, -v11
	v_fmac_f32_e32 v13, v99, v9
	v_mul_f32_e32 v30, v86, v7
	v_fmac_f32_e32 v22, v89, v5
	v_cvt_f64_f32_e32 v[2:3], v2
	v_cvt_f64_f32_e32 v[11:12], v4
	v_fma_f32 v4, v99, v10, -v14
	v_cvt_f64_f32_e32 v[9:10], v13
	v_mul_f32_e32 v29, v86, v8
	v_fma_f32 v30, v85, v8, -v30
	v_cvt_f64_f32_e32 v[13:14], v4
	v_mov_b32_e32 v4, v16
	v_fmac_f32_e32 v29, v85, v7
	v_mul_f64 v[17:18], v[2:3], s[2:3]
	v_mad_u64_u32 v[2:3], null, s11, v82, v[4:5]
	v_mov_b32_e32 v3, v20
	v_mul_f64 v[9:10], v[9:10], s[2:3]
	v_mul_f64 v[11:12], v[11:12], s[2:3]
	v_mul_f32_e32 v5, v90, v5
	v_mul_f64 v[13:14], v[13:14], s[2:3]
	v_mad_u64_u32 v[20:21], null, s9, v104, v[3:4]
	v_mov_b32_e32 v16, v2
	ds_read2_b64 v[1:4], v1 offset0:75 offset1:185
	v_cvt_f64_f32_e32 v[21:22], v22
	v_lshlrev_b64 v[15:16], 3, v[15:16]
	v_add_co_u32 v23, s0, s6, v15
	v_add_co_ci_u32_e64 v24, s0, s7, v16, s0
	v_lshlrev_b64 v[15:16], 3, v[19:20]
	v_cvt_f32_f64_e32 v19, v[9:10]
	v_fma_f32 v9, v89, v6, -v5
	v_cvt_f32_f64_e32 v17, v[17:18]
	v_cvt_f32_f64_e32 v20, v[13:14]
	v_cvt_f32_f64_e32 v18, v[11:12]
	s_waitcnt lgkmcnt(0)
	v_mul_f32_e32 v10, v98, v1
	v_mul_f32_e32 v13, v98, v2
	v_mul_f64 v[5:6], v[21:22], s[2:3]
	v_cvt_f64_f32_e32 v[21:22], v9
	v_fma_f32 v2, v97, v2, -v10
	v_fmac_f32_e32 v13, v97, v1
	ds_read2_b64 v[9:12], v0 offset0:92 offset1:202
	v_add_co_u32 v0, s0, v23, v15
	v_cvt_f64_f32_e32 v[25:26], v2
	v_add_nc_u32_e32 v2, 0x1c00, v103
	v_add_co_ci_u32_e64 v1, s0, v24, v16, s0
	v_cvt_f64_f32_e32 v[23:24], v13
	s_mul_i32 s0, s8, 0x25d
	ds_read2_b64 v[13:16], v2 offset0:39 offset1:149
	s_lshl_b64 s[4:5], s[0:1], 3
	s_mul_hi_u32 s1, s8, 0xfffffe11
	v_add_co_u32 v27, s0, v0, s4
	v_add_co_ci_u32_e64 v28, s0, s5, v1, s0
	global_store_dwordx2 v[0:1], v[17:18], off
	global_store_dwordx2 v[27:28], v[19:20], off
	v_cvt_f32_f64_e32 v0, v[5:6]
	s_waitcnt lgkmcnt(1)
	v_mul_f32_e32 v17, v81, v10
	v_mul_f32_e32 v5, v81, v9
	v_mul_f64 v[1:2], v[21:22], s[2:3]
	v_mul_f32_e32 v21, v94, v4
	v_mul_f32_e32 v22, v94, v3
	v_fmac_f32_e32 v17, v80, v9
	v_fma_f32 v19, v80, v10, -v5
	v_mul_f64 v[9:10], v[25:26], s[2:3]
	v_fmac_f32_e32 v21, v93, v3
	s_waitcnt lgkmcnt(0)
	v_mul_f32_e32 v25, v84, v14
	v_mul_f64 v[5:6], v[23:24], s[2:3]
	v_cvt_f64_f32_e32 v[17:18], v17
	v_cvt_f64_f32_e32 v[19:20], v19
	v_mul_f32_e32 v23, v88, v12
	v_mul_f32_e32 v24, v88, v11
	v_fma_f32 v22, v93, v4, -v22
	v_fmac_f32_e32 v25, v83, v13
	v_mul_f32_e32 v13, v84, v13
	v_mul_f32_e32 v31, v92, v16
	;; [unrolled: 1-line block ×3, first 2 shown]
	v_fmac_f32_e32 v23, v87, v11
	v_fma_f32 v24, v87, v12, -v24
	v_cvt_f64_f32_e32 v[3:4], v21
	v_cvt_f64_f32_e32 v[11:12], v22
	v_fma_f32 v13, v83, v14, -v13
	v_fmac_f32_e32 v31, v91, v15
	v_fma_f32 v32, v91, v16, -v32
	v_cvt_f64_f32_e32 v[21:22], v23
	v_cvt_f64_f32_e32 v[23:24], v24
	;; [unrolled: 1-line block ×8, first 2 shown]
	v_mul_f64 v[17:18], v[17:18], s[2:3]
	v_mul_f64 v[19:20], v[19:20], s[2:3]
	v_cvt_f32_f64_e32 v1, v[1:2]
	s_mul_i32 s0, s9, 0xfffffe11
	s_sub_i32 s1, s1, s8
	s_add_i32 s1, s1, s0
	s_mul_i32 s0, s8, 0xfffffe11
	v_mul_f64 v[2:3], v[3:4], s[2:3]
	v_mul_f64 v[11:12], v[11:12], s[2:3]
	s_lshl_b64 s[6:7], s[0:1], 3
	v_cvt_f32_f64_e32 v4, v[5:6]
	v_cvt_f32_f64_e32 v5, v[9:10]
	v_mul_f64 v[9:10], v[21:22], s[2:3]
	v_mul_f64 v[21:22], v[23:24], s[2:3]
	v_mul_f64 v[6:7], v[7:8], s[2:3]
	v_mul_f64 v[15:16], v[15:16], s[2:3]
	v_add_co_u32 v27, s0, v27, s6
	v_mul_f64 v[23:24], v[25:26], s[2:3]
	v_mul_f64 v[13:14], v[13:14], s[2:3]
	v_add_co_ci_u32_e64 v28, s0, s7, v28, s0
	v_mul_f64 v[25:26], v[29:30], s[2:3]
	v_mul_f64 v[29:30], v[31:32], s[2:3]
	v_add_co_u32 v31, s0, v27, s4
	v_add_co_ci_u32_e64 v32, s0, s5, v28, s0
	v_cvt_f32_f64_e32 v17, v[17:18]
	v_cvt_f32_f64_e32 v18, v[19:20]
	v_add_co_u32 v19, s0, v31, s6
	v_add_co_ci_u32_e64 v20, s0, s7, v32, s0
	v_cvt_f32_f64_e32 v2, v[2:3]
	v_cvt_f32_f64_e32 v3, v[11:12]
	;; [unrolled: 4-line block ×3, first 2 shown]
	v_cvt_f32_f64_e32 v22, v[6:7]
	v_cvt_f32_f64_e32 v7, v[15:16]
	v_add_co_u32 v15, s0, v11, s6
	v_cvt_f32_f64_e32 v21, v[23:24]
	v_add_co_ci_u32_e64 v16, s0, s7, v12, s0
	v_cvt_f32_f64_e32 v6, v[13:14]
	v_cvt_f32_f64_e32 v13, v[25:26]
	;; [unrolled: 1-line block ×3, first 2 shown]
	v_add_co_u32 v23, s0, v15, s4
	v_add_co_ci_u32_e64 v24, s0, s5, v16, s0
	global_store_dwordx2 v[27:28], v[0:1], off
	global_store_dwordx2 v[31:32], v[4:5], off
	v_add_co_u32 v4, s0, v23, s6
	v_add_co_ci_u32_e64 v5, s0, s7, v24, s0
	global_store_dwordx2 v[19:20], v[17:18], off
	v_add_co_u32 v0, s0, v4, s4
	v_add_co_ci_u32_e64 v1, s0, s5, v5, s0
	global_store_dwordx2 v[11:12], v[2:3], off
	global_store_dwordx2 v[15:16], v[8:9], off
	;; [unrolled: 1-line block ×5, first 2 shown]
	s_and_b32 exec_lo, exec_lo, vcc_lo
	s_cbranch_execz .LBB0_23
; %bb.22:
	s_clause 0x1
	global_load_dwordx2 v[2:3], v[76:77], off offset:304
	global_load_dwordx2 v[4:5], v[78:79], off offset:1048
	ds_read_b64 v[6:7], v103 offset:4400
	ds_read_b64 v[8:9], v103 offset:9240
	v_add_co_u32 v0, vcc_lo, v0, s6
	v_add_co_ci_u32_e32 v1, vcc_lo, s7, v1, vcc_lo
	s_waitcnt vmcnt(1) lgkmcnt(1)
	v_mul_f32_e32 v10, v7, v3
	v_mul_f32_e32 v3, v6, v3
	s_waitcnt vmcnt(0) lgkmcnt(0)
	v_mul_f32_e32 v11, v9, v5
	v_mul_f32_e32 v5, v8, v5
	v_fmac_f32_e32 v10, v6, v2
	v_fma_f32 v6, v2, v7, -v3
	v_fmac_f32_e32 v11, v8, v4
	v_fma_f32 v8, v4, v9, -v5
	v_cvt_f64_f32_e32 v[2:3], v10
	v_cvt_f64_f32_e32 v[4:5], v6
	;; [unrolled: 1-line block ×4, first 2 shown]
	v_mul_f64 v[2:3], v[2:3], s[2:3]
	v_mul_f64 v[4:5], v[4:5], s[2:3]
	;; [unrolled: 1-line block ×4, first 2 shown]
	v_cvt_f32_f64_e32 v2, v[2:3]
	v_cvt_f32_f64_e32 v3, v[4:5]
	;; [unrolled: 1-line block ×4, first 2 shown]
	v_add_co_u32 v6, vcc_lo, v0, s4
	v_add_co_ci_u32_e32 v7, vcc_lo, s5, v1, vcc_lo
	global_store_dwordx2 v[0:1], v[2:3], off
	global_store_dwordx2 v[6:7], v[4:5], off
.LBB0_23:
	s_endpgm
	.section	.rodata,"a",@progbits
	.p2align	6, 0x0
	.amdhsa_kernel bluestein_single_fwd_len1210_dim1_sp_op_CI_CI
		.amdhsa_group_segment_fixed_size 9680
		.amdhsa_private_segment_fixed_size 0
		.amdhsa_kernarg_size 104
		.amdhsa_user_sgpr_count 6
		.amdhsa_user_sgpr_private_segment_buffer 1
		.amdhsa_user_sgpr_dispatch_ptr 0
		.amdhsa_user_sgpr_queue_ptr 0
		.amdhsa_user_sgpr_kernarg_segment_ptr 1
		.amdhsa_user_sgpr_dispatch_id 0
		.amdhsa_user_sgpr_flat_scratch_init 0
		.amdhsa_user_sgpr_private_segment_size 0
		.amdhsa_wavefront_size32 1
		.amdhsa_uses_dynamic_stack 0
		.amdhsa_system_sgpr_private_segment_wavefront_offset 0
		.amdhsa_system_sgpr_workgroup_id_x 1
		.amdhsa_system_sgpr_workgroup_id_y 0
		.amdhsa_system_sgpr_workgroup_id_z 0
		.amdhsa_system_sgpr_workgroup_info 0
		.amdhsa_system_vgpr_workitem_id 0
		.amdhsa_next_free_vgpr 218
		.amdhsa_next_free_sgpr 16
		.amdhsa_reserve_vcc 1
		.amdhsa_reserve_flat_scratch 0
		.amdhsa_float_round_mode_32 0
		.amdhsa_float_round_mode_16_64 0
		.amdhsa_float_denorm_mode_32 3
		.amdhsa_float_denorm_mode_16_64 3
		.amdhsa_dx10_clamp 1
		.amdhsa_ieee_mode 1
		.amdhsa_fp16_overflow 0
		.amdhsa_workgroup_processor_mode 1
		.amdhsa_memory_ordered 1
		.amdhsa_forward_progress 0
		.amdhsa_shared_vgpr_count 0
		.amdhsa_exception_fp_ieee_invalid_op 0
		.amdhsa_exception_fp_denorm_src 0
		.amdhsa_exception_fp_ieee_div_zero 0
		.amdhsa_exception_fp_ieee_overflow 0
		.amdhsa_exception_fp_ieee_underflow 0
		.amdhsa_exception_fp_ieee_inexact 0
		.amdhsa_exception_int_div_zero 0
	.end_amdhsa_kernel
	.text
.Lfunc_end0:
	.size	bluestein_single_fwd_len1210_dim1_sp_op_CI_CI, .Lfunc_end0-bluestein_single_fwd_len1210_dim1_sp_op_CI_CI
                                        ; -- End function
	.section	.AMDGPU.csdata,"",@progbits
; Kernel info:
; codeLenInByte = 15992
; NumSgprs: 18
; NumVgprs: 218
; ScratchSize: 0
; MemoryBound: 0
; FloatMode: 240
; IeeeMode: 1
; LDSByteSize: 9680 bytes/workgroup (compile time only)
; SGPRBlocks: 2
; VGPRBlocks: 27
; NumSGPRsForWavesPerEU: 18
; NumVGPRsForWavesPerEU: 218
; Occupancy: 4
; WaveLimiterHint : 1
; COMPUTE_PGM_RSRC2:SCRATCH_EN: 0
; COMPUTE_PGM_RSRC2:USER_SGPR: 6
; COMPUTE_PGM_RSRC2:TRAP_HANDLER: 0
; COMPUTE_PGM_RSRC2:TGID_X_EN: 1
; COMPUTE_PGM_RSRC2:TGID_Y_EN: 0
; COMPUTE_PGM_RSRC2:TGID_Z_EN: 0
; COMPUTE_PGM_RSRC2:TIDIG_COMP_CNT: 0
	.text
	.p2alignl 6, 3214868480
	.fill 48, 4, 3214868480
	.type	__hip_cuid_a65b752e4b74bdb3,@object ; @__hip_cuid_a65b752e4b74bdb3
	.section	.bss,"aw",@nobits
	.globl	__hip_cuid_a65b752e4b74bdb3
__hip_cuid_a65b752e4b74bdb3:
	.byte	0                               ; 0x0
	.size	__hip_cuid_a65b752e4b74bdb3, 1

	.ident	"AMD clang version 19.0.0git (https://github.com/RadeonOpenCompute/llvm-project roc-6.4.0 25133 c7fe45cf4b819c5991fe208aaa96edf142730f1d)"
	.section	".note.GNU-stack","",@progbits
	.addrsig
	.addrsig_sym __hip_cuid_a65b752e4b74bdb3
	.amdgpu_metadata
---
amdhsa.kernels:
  - .args:
      - .actual_access:  read_only
        .address_space:  global
        .offset:         0
        .size:           8
        .value_kind:     global_buffer
      - .actual_access:  read_only
        .address_space:  global
        .offset:         8
        .size:           8
        .value_kind:     global_buffer
      - .actual_access:  read_only
        .address_space:  global
        .offset:         16
        .size:           8
        .value_kind:     global_buffer
      - .actual_access:  read_only
        .address_space:  global
        .offset:         24
        .size:           8
        .value_kind:     global_buffer
      - .actual_access:  read_only
        .address_space:  global
        .offset:         32
        .size:           8
        .value_kind:     global_buffer
      - .offset:         40
        .size:           8
        .value_kind:     by_value
      - .address_space:  global
        .offset:         48
        .size:           8
        .value_kind:     global_buffer
      - .address_space:  global
        .offset:         56
        .size:           8
        .value_kind:     global_buffer
      - .address_space:  global
        .offset:         64
        .size:           8
        .value_kind:     global_buffer
      - .address_space:  global
        .offset:         72
        .size:           8
        .value_kind:     global_buffer
      - .offset:         80
        .size:           4
        .value_kind:     by_value
      - .address_space:  global
        .offset:         88
        .size:           8
        .value_kind:     global_buffer
      - .address_space:  global
        .offset:         96
        .size:           8
        .value_kind:     global_buffer
    .group_segment_fixed_size: 9680
    .kernarg_segment_align: 8
    .kernarg_segment_size: 104
    .language:       OpenCL C
    .language_version:
      - 2
      - 0
    .max_flat_workgroup_size: 110
    .name:           bluestein_single_fwd_len1210_dim1_sp_op_CI_CI
    .private_segment_fixed_size: 0
    .sgpr_count:     18
    .sgpr_spill_count: 0
    .symbol:         bluestein_single_fwd_len1210_dim1_sp_op_CI_CI.kd
    .uniform_work_group_size: 1
    .uses_dynamic_stack: false
    .vgpr_count:     218
    .vgpr_spill_count: 0
    .wavefront_size: 32
    .workgroup_processor_mode: 1
amdhsa.target:   amdgcn-amd-amdhsa--gfx1030
amdhsa.version:
  - 1
  - 2
...

	.end_amdgpu_metadata
